;; amdgpu-corpus repo=ROCm/hipCUB kind=compiled arch=gfx90a opt=O3
	.text
	.amdgcn_target "amdgcn-amd-amdhsa--gfx90a"
	.amdhsa_code_object_version 6
	.section	.text._Z20warp_exchange_kernelILj128ELj4ELj16ELN6hipcub21WarpExchangeAlgorithmE0E18StripedToBlockedOpiEvPT4_,"axG",@progbits,_Z20warp_exchange_kernelILj128ELj4ELj16ELN6hipcub21WarpExchangeAlgorithmE0E18StripedToBlockedOpiEvPT4_,comdat
	.protected	_Z20warp_exchange_kernelILj128ELj4ELj16ELN6hipcub21WarpExchangeAlgorithmE0E18StripedToBlockedOpiEvPT4_ ; -- Begin function _Z20warp_exchange_kernelILj128ELj4ELj16ELN6hipcub21WarpExchangeAlgorithmE0E18StripedToBlockedOpiEvPT4_
	.globl	_Z20warp_exchange_kernelILj128ELj4ELj16ELN6hipcub21WarpExchangeAlgorithmE0E18StripedToBlockedOpiEvPT4_
	.p2align	8
	.type	_Z20warp_exchange_kernelILj128ELj4ELj16ELN6hipcub21WarpExchangeAlgorithmE0E18StripedToBlockedOpiEvPT4_,@function
_Z20warp_exchange_kernelILj128ELj4ELj16ELN6hipcub21WarpExchangeAlgorithmE0E18StripedToBlockedOpiEvPT4_: ; @_Z20warp_exchange_kernelILj128ELj4ELj16ELN6hipcub21WarpExchangeAlgorithmE0E18StripedToBlockedOpiEvPT4_
; %bb.0:
	v_mbcnt_lo_u32_b32 v3, -1, 0
	v_mbcnt_hi_u32_b32 v3, -1, v3
	v_and_b32_e32 v3, 15, v3
	v_lshlrev_b32_e32 v2, 4, v0
	v_lshlrev_b32_e32 v5, 2, v3
	s_movk_i32 s2, 0x700
	v_mov_b32_e32 v1, 0
	v_and_or_b32 v2, v2, s2, v5
	v_mov_b32_e32 v5, 1
	s_load_dwordx2 s[0:1], s[4:5], 0x0
	v_mov_b32_e32 v4, 2
	ds_write2_b32 v2, v1, v5 offset1:16
	v_mov_b32_e32 v5, 3
	v_lshlrev_b32_e32 v0, 2, v0
	ds_write2_b32 v2, v4, v5 offset0:32 offset1:48
	v_mad_u32_u24 v2, v3, 12, v2
	v_lshl_or_b32 v0, s6, 9, v0
	; wave barrier
	v_lshlrev_b64 v[4:5], 2, v[0:1]
	ds_read_b128 v[0:3], v2
	s_waitcnt lgkmcnt(0)
	v_mov_b32_e32 v6, s1
	v_add_co_u32_e32 v4, vcc, s0, v4
	v_addc_co_u32_e32 v5, vcc, v6, v5, vcc
	global_store_dwordx4 v[4:5], v[0:3], off
	s_endpgm
	.section	.rodata,"a",@progbits
	.p2align	6, 0x0
	.amdhsa_kernel _Z20warp_exchange_kernelILj128ELj4ELj16ELN6hipcub21WarpExchangeAlgorithmE0E18StripedToBlockedOpiEvPT4_
		.amdhsa_group_segment_fixed_size 2048
		.amdhsa_private_segment_fixed_size 0
		.amdhsa_kernarg_size 8
		.amdhsa_user_sgpr_count 6
		.amdhsa_user_sgpr_private_segment_buffer 1
		.amdhsa_user_sgpr_dispatch_ptr 0
		.amdhsa_user_sgpr_queue_ptr 0
		.amdhsa_user_sgpr_kernarg_segment_ptr 1
		.amdhsa_user_sgpr_dispatch_id 0
		.amdhsa_user_sgpr_flat_scratch_init 0
		.amdhsa_user_sgpr_kernarg_preload_length 0
		.amdhsa_user_sgpr_kernarg_preload_offset 0
		.amdhsa_user_sgpr_private_segment_size 0
		.amdhsa_uses_dynamic_stack 0
		.amdhsa_system_sgpr_private_segment_wavefront_offset 0
		.amdhsa_system_sgpr_workgroup_id_x 1
		.amdhsa_system_sgpr_workgroup_id_y 0
		.amdhsa_system_sgpr_workgroup_id_z 0
		.amdhsa_system_sgpr_workgroup_info 0
		.amdhsa_system_vgpr_workitem_id 0
		.amdhsa_next_free_vgpr 7
		.amdhsa_next_free_sgpr 7
		.amdhsa_accum_offset 8
		.amdhsa_reserve_vcc 1
		.amdhsa_reserve_flat_scratch 0
		.amdhsa_float_round_mode_32 0
		.amdhsa_float_round_mode_16_64 0
		.amdhsa_float_denorm_mode_32 3
		.amdhsa_float_denorm_mode_16_64 3
		.amdhsa_dx10_clamp 1
		.amdhsa_ieee_mode 1
		.amdhsa_fp16_overflow 0
		.amdhsa_tg_split 0
		.amdhsa_exception_fp_ieee_invalid_op 0
		.amdhsa_exception_fp_denorm_src 0
		.amdhsa_exception_fp_ieee_div_zero 0
		.amdhsa_exception_fp_ieee_overflow 0
		.amdhsa_exception_fp_ieee_underflow 0
		.amdhsa_exception_fp_ieee_inexact 0
		.amdhsa_exception_int_div_zero 0
	.end_amdhsa_kernel
	.section	.text._Z20warp_exchange_kernelILj128ELj4ELj16ELN6hipcub21WarpExchangeAlgorithmE0E18StripedToBlockedOpiEvPT4_,"axG",@progbits,_Z20warp_exchange_kernelILj128ELj4ELj16ELN6hipcub21WarpExchangeAlgorithmE0E18StripedToBlockedOpiEvPT4_,comdat
.Lfunc_end0:
	.size	_Z20warp_exchange_kernelILj128ELj4ELj16ELN6hipcub21WarpExchangeAlgorithmE0E18StripedToBlockedOpiEvPT4_, .Lfunc_end0-_Z20warp_exchange_kernelILj128ELj4ELj16ELN6hipcub21WarpExchangeAlgorithmE0E18StripedToBlockedOpiEvPT4_
                                        ; -- End function
	.section	.AMDGPU.csdata,"",@progbits
; Kernel info:
; codeLenInByte = 144
; NumSgprs: 11
; NumVgprs: 7
; NumAgprs: 0
; TotalNumVgprs: 7
; ScratchSize: 0
; MemoryBound: 0
; FloatMode: 240
; IeeeMode: 1
; LDSByteSize: 2048 bytes/workgroup (compile time only)
; SGPRBlocks: 1
; VGPRBlocks: 0
; NumSGPRsForWavesPerEU: 11
; NumVGPRsForWavesPerEU: 7
; AccumOffset: 8
; Occupancy: 8
; WaveLimiterHint : 0
; COMPUTE_PGM_RSRC2:SCRATCH_EN: 0
; COMPUTE_PGM_RSRC2:USER_SGPR: 6
; COMPUTE_PGM_RSRC2:TRAP_HANDLER: 0
; COMPUTE_PGM_RSRC2:TGID_X_EN: 1
; COMPUTE_PGM_RSRC2:TGID_Y_EN: 0
; COMPUTE_PGM_RSRC2:TGID_Z_EN: 0
; COMPUTE_PGM_RSRC2:TIDIG_COMP_CNT: 0
; COMPUTE_PGM_RSRC3_GFX90A:ACCUM_OFFSET: 1
; COMPUTE_PGM_RSRC3_GFX90A:TG_SPLIT: 0
	.section	.text._Z20warp_exchange_kernelILj128ELj4ELj16ELN6hipcub21WarpExchangeAlgorithmE0E18BlockedToStripedOpiEvPT4_,"axG",@progbits,_Z20warp_exchange_kernelILj128ELj4ELj16ELN6hipcub21WarpExchangeAlgorithmE0E18BlockedToStripedOpiEvPT4_,comdat
	.protected	_Z20warp_exchange_kernelILj128ELj4ELj16ELN6hipcub21WarpExchangeAlgorithmE0E18BlockedToStripedOpiEvPT4_ ; -- Begin function _Z20warp_exchange_kernelILj128ELj4ELj16ELN6hipcub21WarpExchangeAlgorithmE0E18BlockedToStripedOpiEvPT4_
	.globl	_Z20warp_exchange_kernelILj128ELj4ELj16ELN6hipcub21WarpExchangeAlgorithmE0E18BlockedToStripedOpiEvPT4_
	.p2align	8
	.type	_Z20warp_exchange_kernelILj128ELj4ELj16ELN6hipcub21WarpExchangeAlgorithmE0E18BlockedToStripedOpiEvPT4_,@function
_Z20warp_exchange_kernelILj128ELj4ELj16ELN6hipcub21WarpExchangeAlgorithmE0E18BlockedToStripedOpiEvPT4_: ; @_Z20warp_exchange_kernelILj128ELj4ELj16ELN6hipcub21WarpExchangeAlgorithmE0E18BlockedToStripedOpiEvPT4_
; %bb.0:
	v_mbcnt_lo_u32_b32 v3, -1, 0
	v_mbcnt_hi_u32_b32 v3, -1, v3
	v_and_b32_e32 v6, 15, v3
	v_lshlrev_b32_e32 v1, 4, v0
	v_lshlrev_b32_e32 v3, 4, v6
	s_movk_i32 s2, 0x700
	s_load_dwordx2 s[0:1], s[4:5], 0x0
	v_mov_b32_e32 v2, 0
	v_and_or_b32 v1, v1, s2, v3
	v_mov_b32_e32 v3, 1
	v_mov_b32_e32 v4, 2
	;; [unrolled: 1-line block ×3, first 2 shown]
	ds_write_b128 v1, v[2:5]
	v_mad_i32_i24 v1, v6, -12, v1
	; wave barrier
	ds_read2_b32 v[4:5], v1 offset1:16
	ds_read2_b32 v[6:7], v1 offset0:32 offset1:48
	v_lshlrev_b32_e32 v0, 2, v0
	v_lshl_or_b32 v0, s6, 9, v0
	v_mov_b32_e32 v1, v2
	v_lshlrev_b64 v[0:1], 2, v[0:1]
	s_waitcnt lgkmcnt(0)
	v_mov_b32_e32 v2, s1
	v_add_co_u32_e32 v0, vcc, s0, v0
	v_addc_co_u32_e32 v1, vcc, v2, v1, vcc
	global_store_dwordx4 v[0:1], v[4:7], off
	s_endpgm
	.section	.rodata,"a",@progbits
	.p2align	6, 0x0
	.amdhsa_kernel _Z20warp_exchange_kernelILj128ELj4ELj16ELN6hipcub21WarpExchangeAlgorithmE0E18BlockedToStripedOpiEvPT4_
		.amdhsa_group_segment_fixed_size 2048
		.amdhsa_private_segment_fixed_size 0
		.amdhsa_kernarg_size 8
		.amdhsa_user_sgpr_count 6
		.amdhsa_user_sgpr_private_segment_buffer 1
		.amdhsa_user_sgpr_dispatch_ptr 0
		.amdhsa_user_sgpr_queue_ptr 0
		.amdhsa_user_sgpr_kernarg_segment_ptr 1
		.amdhsa_user_sgpr_dispatch_id 0
		.amdhsa_user_sgpr_flat_scratch_init 0
		.amdhsa_user_sgpr_kernarg_preload_length 0
		.amdhsa_user_sgpr_kernarg_preload_offset 0
		.amdhsa_user_sgpr_private_segment_size 0
		.amdhsa_uses_dynamic_stack 0
		.amdhsa_system_sgpr_private_segment_wavefront_offset 0
		.amdhsa_system_sgpr_workgroup_id_x 1
		.amdhsa_system_sgpr_workgroup_id_y 0
		.amdhsa_system_sgpr_workgroup_id_z 0
		.amdhsa_system_sgpr_workgroup_info 0
		.amdhsa_system_vgpr_workitem_id 0
		.amdhsa_next_free_vgpr 8
		.amdhsa_next_free_sgpr 7
		.amdhsa_accum_offset 8
		.amdhsa_reserve_vcc 1
		.amdhsa_reserve_flat_scratch 0
		.amdhsa_float_round_mode_32 0
		.amdhsa_float_round_mode_16_64 0
		.amdhsa_float_denorm_mode_32 3
		.amdhsa_float_denorm_mode_16_64 3
		.amdhsa_dx10_clamp 1
		.amdhsa_ieee_mode 1
		.amdhsa_fp16_overflow 0
		.amdhsa_tg_split 0
		.amdhsa_exception_fp_ieee_invalid_op 0
		.amdhsa_exception_fp_denorm_src 0
		.amdhsa_exception_fp_ieee_div_zero 0
		.amdhsa_exception_fp_ieee_overflow 0
		.amdhsa_exception_fp_ieee_underflow 0
		.amdhsa_exception_fp_ieee_inexact 0
		.amdhsa_exception_int_div_zero 0
	.end_amdhsa_kernel
	.section	.text._Z20warp_exchange_kernelILj128ELj4ELj16ELN6hipcub21WarpExchangeAlgorithmE0E18BlockedToStripedOpiEvPT4_,"axG",@progbits,_Z20warp_exchange_kernelILj128ELj4ELj16ELN6hipcub21WarpExchangeAlgorithmE0E18BlockedToStripedOpiEvPT4_,comdat
.Lfunc_end1:
	.size	_Z20warp_exchange_kernelILj128ELj4ELj16ELN6hipcub21WarpExchangeAlgorithmE0E18BlockedToStripedOpiEvPT4_, .Lfunc_end1-_Z20warp_exchange_kernelILj128ELj4ELj16ELN6hipcub21WarpExchangeAlgorithmE0E18BlockedToStripedOpiEvPT4_
                                        ; -- End function
	.section	.AMDGPU.csdata,"",@progbits
; Kernel info:
; codeLenInByte = 148
; NumSgprs: 11
; NumVgprs: 8
; NumAgprs: 0
; TotalNumVgprs: 8
; ScratchSize: 0
; MemoryBound: 0
; FloatMode: 240
; IeeeMode: 1
; LDSByteSize: 2048 bytes/workgroup (compile time only)
; SGPRBlocks: 1
; VGPRBlocks: 0
; NumSGPRsForWavesPerEU: 11
; NumVGPRsForWavesPerEU: 8
; AccumOffset: 8
; Occupancy: 8
; WaveLimiterHint : 0
; COMPUTE_PGM_RSRC2:SCRATCH_EN: 0
; COMPUTE_PGM_RSRC2:USER_SGPR: 6
; COMPUTE_PGM_RSRC2:TRAP_HANDLER: 0
; COMPUTE_PGM_RSRC2:TGID_X_EN: 1
; COMPUTE_PGM_RSRC2:TGID_Y_EN: 0
; COMPUTE_PGM_RSRC2:TGID_Z_EN: 0
; COMPUTE_PGM_RSRC2:TIDIG_COMP_CNT: 0
; COMPUTE_PGM_RSRC3_GFX90A:ACCUM_OFFSET: 1
; COMPUTE_PGM_RSRC3_GFX90A:TG_SPLIT: 0
	.section	.text._Z20warp_exchange_kernelILj128ELj16ELj16ELN6hipcub21WarpExchangeAlgorithmE0E18StripedToBlockedOpiEvPT4_,"axG",@progbits,_Z20warp_exchange_kernelILj128ELj16ELj16ELN6hipcub21WarpExchangeAlgorithmE0E18StripedToBlockedOpiEvPT4_,comdat
	.protected	_Z20warp_exchange_kernelILj128ELj16ELj16ELN6hipcub21WarpExchangeAlgorithmE0E18StripedToBlockedOpiEvPT4_ ; -- Begin function _Z20warp_exchange_kernelILj128ELj16ELj16ELN6hipcub21WarpExchangeAlgorithmE0E18StripedToBlockedOpiEvPT4_
	.globl	_Z20warp_exchange_kernelILj128ELj16ELj16ELN6hipcub21WarpExchangeAlgorithmE0E18StripedToBlockedOpiEvPT4_
	.p2align	8
	.type	_Z20warp_exchange_kernelILj128ELj16ELj16ELN6hipcub21WarpExchangeAlgorithmE0E18StripedToBlockedOpiEvPT4_,@function
_Z20warp_exchange_kernelILj128ELj16ELj16ELN6hipcub21WarpExchangeAlgorithmE0E18StripedToBlockedOpiEvPT4_: ; @_Z20warp_exchange_kernelILj128ELj16ELj16ELN6hipcub21WarpExchangeAlgorithmE0E18StripedToBlockedOpiEvPT4_
; %bb.0:
	v_mbcnt_lo_u32_b32 v4, -1, 0
	v_mbcnt_hi_u32_b32 v4, -1, v4
	v_and_b32_e32 v4, 15, v4
	v_lshlrev_b32_e32 v3, 6, v0
	v_lshlrev_b32_e32 v7, 2, v4
	s_movk_i32 s2, 0x1c00
	v_mov_b32_e32 v1, 0
	v_and_or_b32 v3, v3, s2, v7
	v_mov_b32_e32 v7, 1
	v_mov_b32_e32 v6, 2
	ds_write2_b32 v3, v1, v7 offset1:16
	v_mov_b32_e32 v7, 3
	ds_write2_b32 v3, v6, v7 offset0:32 offset1:48
	v_mov_b32_e32 v6, 4
	v_mov_b32_e32 v7, 5
	v_mov_b32_e32 v2, 6
	ds_write2_b32 v3, v6, v7 offset0:64 offset1:80
	v_mov_b32_e32 v6, 7
	ds_write2_b32 v3, v2, v6 offset0:96 offset1:112
	v_mov_b32_e32 v2, 8
	v_mov_b32_e32 v6, 9
	ds_write2_b32 v3, v2, v6 offset0:128 offset1:144
	v_mov_b32_e32 v2, 10
	v_mov_b32_e32 v6, 11
	s_load_dwordx2 s[0:1], s[4:5], 0x0
	ds_write2_b32 v3, v2, v6 offset0:160 offset1:176
	v_mov_b32_e32 v2, 12
	v_mov_b32_e32 v6, 13
	v_lshlrev_b32_e32 v0, 4, v0
	v_mov_b32_e32 v5, 15
	ds_write2_b32 v3, v2, v6 offset0:192 offset1:208
	v_mov_b32_e32 v2, 14
	v_mad_u32_u24 v12, v4, 60, v3
	v_lshl_or_b32 v0, s6, 11, v0
	ds_write2_b32 v3, v2, v5 offset0:224 offset1:240
	; wave barrier
	v_lshlrev_b64 v[16:17], 2, v[0:1]
	ds_read_b128 v[0:3], v12
	ds_read_b128 v[4:7], v12 offset:16
	ds_read_b128 v[8:11], v12 offset:32
	;; [unrolled: 1-line block ×3, first 2 shown]
	s_waitcnt lgkmcnt(0)
	v_mov_b32_e32 v18, s1
	v_add_co_u32_e32 v16, vcc, s0, v16
	v_addc_co_u32_e32 v17, vcc, v18, v17, vcc
	global_store_dwordx4 v[16:17], v[0:3], off
	global_store_dwordx4 v[16:17], v[4:7], off offset:16
	global_store_dwordx4 v[16:17], v[8:11], off offset:32
	;; [unrolled: 1-line block ×3, first 2 shown]
	s_endpgm
	.section	.rodata,"a",@progbits
	.p2align	6, 0x0
	.amdhsa_kernel _Z20warp_exchange_kernelILj128ELj16ELj16ELN6hipcub21WarpExchangeAlgorithmE0E18StripedToBlockedOpiEvPT4_
		.amdhsa_group_segment_fixed_size 8192
		.amdhsa_private_segment_fixed_size 0
		.amdhsa_kernarg_size 8
		.amdhsa_user_sgpr_count 6
		.amdhsa_user_sgpr_private_segment_buffer 1
		.amdhsa_user_sgpr_dispatch_ptr 0
		.amdhsa_user_sgpr_queue_ptr 0
		.amdhsa_user_sgpr_kernarg_segment_ptr 1
		.amdhsa_user_sgpr_dispatch_id 0
		.amdhsa_user_sgpr_flat_scratch_init 0
		.amdhsa_user_sgpr_kernarg_preload_length 0
		.amdhsa_user_sgpr_kernarg_preload_offset 0
		.amdhsa_user_sgpr_private_segment_size 0
		.amdhsa_uses_dynamic_stack 0
		.amdhsa_system_sgpr_private_segment_wavefront_offset 0
		.amdhsa_system_sgpr_workgroup_id_x 1
		.amdhsa_system_sgpr_workgroup_id_y 0
		.amdhsa_system_sgpr_workgroup_id_z 0
		.amdhsa_system_sgpr_workgroup_info 0
		.amdhsa_system_vgpr_workitem_id 0
		.amdhsa_next_free_vgpr 19
		.amdhsa_next_free_sgpr 7
		.amdhsa_accum_offset 20
		.amdhsa_reserve_vcc 1
		.amdhsa_reserve_flat_scratch 0
		.amdhsa_float_round_mode_32 0
		.amdhsa_float_round_mode_16_64 0
		.amdhsa_float_denorm_mode_32 3
		.amdhsa_float_denorm_mode_16_64 3
		.amdhsa_dx10_clamp 1
		.amdhsa_ieee_mode 1
		.amdhsa_fp16_overflow 0
		.amdhsa_tg_split 0
		.amdhsa_exception_fp_ieee_invalid_op 0
		.amdhsa_exception_fp_denorm_src 0
		.amdhsa_exception_fp_ieee_div_zero 0
		.amdhsa_exception_fp_ieee_overflow 0
		.amdhsa_exception_fp_ieee_underflow 0
		.amdhsa_exception_fp_ieee_inexact 0
		.amdhsa_exception_int_div_zero 0
	.end_amdhsa_kernel
	.section	.text._Z20warp_exchange_kernelILj128ELj16ELj16ELN6hipcub21WarpExchangeAlgorithmE0E18StripedToBlockedOpiEvPT4_,"axG",@progbits,_Z20warp_exchange_kernelILj128ELj16ELj16ELN6hipcub21WarpExchangeAlgorithmE0E18StripedToBlockedOpiEvPT4_,comdat
.Lfunc_end2:
	.size	_Z20warp_exchange_kernelILj128ELj16ELj16ELN6hipcub21WarpExchangeAlgorithmE0E18StripedToBlockedOpiEvPT4_, .Lfunc_end2-_Z20warp_exchange_kernelILj128ELj16ELj16ELN6hipcub21WarpExchangeAlgorithmE0E18StripedToBlockedOpiEvPT4_
                                        ; -- End function
	.section	.AMDGPU.csdata,"",@progbits
; Kernel info:
; codeLenInByte = 288
; NumSgprs: 11
; NumVgprs: 19
; NumAgprs: 0
; TotalNumVgprs: 19
; ScratchSize: 0
; MemoryBound: 0
; FloatMode: 240
; IeeeMode: 1
; LDSByteSize: 8192 bytes/workgroup (compile time only)
; SGPRBlocks: 1
; VGPRBlocks: 2
; NumSGPRsForWavesPerEU: 11
; NumVGPRsForWavesPerEU: 19
; AccumOffset: 20
; Occupancy: 4
; WaveLimiterHint : 0
; COMPUTE_PGM_RSRC2:SCRATCH_EN: 0
; COMPUTE_PGM_RSRC2:USER_SGPR: 6
; COMPUTE_PGM_RSRC2:TRAP_HANDLER: 0
; COMPUTE_PGM_RSRC2:TGID_X_EN: 1
; COMPUTE_PGM_RSRC2:TGID_Y_EN: 0
; COMPUTE_PGM_RSRC2:TGID_Z_EN: 0
; COMPUTE_PGM_RSRC2:TIDIG_COMP_CNT: 0
; COMPUTE_PGM_RSRC3_GFX90A:ACCUM_OFFSET: 4
; COMPUTE_PGM_RSRC3_GFX90A:TG_SPLIT: 0
	.section	.text._Z20warp_exchange_kernelILj128ELj16ELj16ELN6hipcub21WarpExchangeAlgorithmE0E18BlockedToStripedOpiEvPT4_,"axG",@progbits,_Z20warp_exchange_kernelILj128ELj16ELj16ELN6hipcub21WarpExchangeAlgorithmE0E18BlockedToStripedOpiEvPT4_,comdat
	.protected	_Z20warp_exchange_kernelILj128ELj16ELj16ELN6hipcub21WarpExchangeAlgorithmE0E18BlockedToStripedOpiEvPT4_ ; -- Begin function _Z20warp_exchange_kernelILj128ELj16ELj16ELN6hipcub21WarpExchangeAlgorithmE0E18BlockedToStripedOpiEvPT4_
	.globl	_Z20warp_exchange_kernelILj128ELj16ELj16ELN6hipcub21WarpExchangeAlgorithmE0E18BlockedToStripedOpiEvPT4_
	.p2align	8
	.type	_Z20warp_exchange_kernelILj128ELj16ELj16ELN6hipcub21WarpExchangeAlgorithmE0E18BlockedToStripedOpiEvPT4_,@function
_Z20warp_exchange_kernelILj128ELj16ELj16ELN6hipcub21WarpExchangeAlgorithmE0E18BlockedToStripedOpiEvPT4_: ; @_Z20warp_exchange_kernelILj128ELj16ELj16ELN6hipcub21WarpExchangeAlgorithmE0E18BlockedToStripedOpiEvPT4_
; %bb.0:
	v_mbcnt_lo_u32_b32 v3, -1, 0
	v_mbcnt_hi_u32_b32 v3, -1, v3
	v_and_b32_e32 v8, 15, v3
	v_lshlrev_b32_e32 v1, 6, v0
	v_lshlrev_b32_e32 v3, 6, v8
	s_movk_i32 s2, 0x1c00
	v_mov_b32_e32 v2, 0
	v_and_or_b32 v1, v1, s2, v3
	v_mov_b32_e32 v3, 1
	v_mov_b32_e32 v4, 2
	;; [unrolled: 1-line block ×3, first 2 shown]
	ds_write_b128 v1, v[2:5]
	v_mov_b32_e32 v4, 4
	v_mov_b32_e32 v5, 5
	v_mov_b32_e32 v6, 6
	v_mov_b32_e32 v7, 7
	ds_write_b128 v1, v[4:7] offset:16
	v_mov_b32_e32 v4, 8
	v_mov_b32_e32 v5, 9
	;; [unrolled: 1-line block ×4, first 2 shown]
	s_load_dwordx2 s[0:1], s[4:5], 0x0
	ds_write_b128 v1, v[4:7] offset:32
	v_mov_b32_e32 v4, 12
	v_mov_b32_e32 v5, 13
	;; [unrolled: 1-line block ×4, first 2 shown]
	s_movk_i32 s2, 0xffc4
	ds_write_b128 v1, v[4:7] offset:48
	v_mad_i32_i24 v1, v8, s2, v1
	; wave barrier
	ds_read2_b32 v[4:5], v1 offset1:16
	ds_read2_b32 v[6:7], v1 offset0:32 offset1:48
	ds_read2_b32 v[8:9], v1 offset0:64 offset1:80
	;; [unrolled: 1-line block ×7, first 2 shown]
	v_lshlrev_b32_e32 v0, 4, v0
	v_lshl_or_b32 v0, s6, 11, v0
	v_mov_b32_e32 v1, v2
	v_lshlrev_b64 v[0:1], 2, v[0:1]
	s_waitcnt lgkmcnt(0)
	v_mov_b32_e32 v2, s1
	v_add_co_u32_e32 v0, vcc, s0, v0
	v_addc_co_u32_e32 v1, vcc, v2, v1, vcc
	global_store_dwordx4 v[0:1], v[4:7], off
	global_store_dwordx4 v[0:1], v[8:11], off offset:16
	global_store_dwordx4 v[0:1], v[12:15], off offset:32
	;; [unrolled: 1-line block ×3, first 2 shown]
	s_endpgm
	.section	.rodata,"a",@progbits
	.p2align	6, 0x0
	.amdhsa_kernel _Z20warp_exchange_kernelILj128ELj16ELj16ELN6hipcub21WarpExchangeAlgorithmE0E18BlockedToStripedOpiEvPT4_
		.amdhsa_group_segment_fixed_size 8192
		.amdhsa_private_segment_fixed_size 0
		.amdhsa_kernarg_size 8
		.amdhsa_user_sgpr_count 6
		.amdhsa_user_sgpr_private_segment_buffer 1
		.amdhsa_user_sgpr_dispatch_ptr 0
		.amdhsa_user_sgpr_queue_ptr 0
		.amdhsa_user_sgpr_kernarg_segment_ptr 1
		.amdhsa_user_sgpr_dispatch_id 0
		.amdhsa_user_sgpr_flat_scratch_init 0
		.amdhsa_user_sgpr_kernarg_preload_length 0
		.amdhsa_user_sgpr_kernarg_preload_offset 0
		.amdhsa_user_sgpr_private_segment_size 0
		.amdhsa_uses_dynamic_stack 0
		.amdhsa_system_sgpr_private_segment_wavefront_offset 0
		.amdhsa_system_sgpr_workgroup_id_x 1
		.amdhsa_system_sgpr_workgroup_id_y 0
		.amdhsa_system_sgpr_workgroup_id_z 0
		.amdhsa_system_sgpr_workgroup_info 0
		.amdhsa_system_vgpr_workitem_id 0
		.amdhsa_next_free_vgpr 20
		.amdhsa_next_free_sgpr 7
		.amdhsa_accum_offset 20
		.amdhsa_reserve_vcc 1
		.amdhsa_reserve_flat_scratch 0
		.amdhsa_float_round_mode_32 0
		.amdhsa_float_round_mode_16_64 0
		.amdhsa_float_denorm_mode_32 3
		.amdhsa_float_denorm_mode_16_64 3
		.amdhsa_dx10_clamp 1
		.amdhsa_ieee_mode 1
		.amdhsa_fp16_overflow 0
		.amdhsa_tg_split 0
		.amdhsa_exception_fp_ieee_invalid_op 0
		.amdhsa_exception_fp_denorm_src 0
		.amdhsa_exception_fp_ieee_div_zero 0
		.amdhsa_exception_fp_ieee_overflow 0
		.amdhsa_exception_fp_ieee_underflow 0
		.amdhsa_exception_fp_ieee_inexact 0
		.amdhsa_exception_int_div_zero 0
	.end_amdhsa_kernel
	.section	.text._Z20warp_exchange_kernelILj128ELj16ELj16ELN6hipcub21WarpExchangeAlgorithmE0E18BlockedToStripedOpiEvPT4_,"axG",@progbits,_Z20warp_exchange_kernelILj128ELj16ELj16ELN6hipcub21WarpExchangeAlgorithmE0E18BlockedToStripedOpiEvPT4_,comdat
.Lfunc_end3:
	.size	_Z20warp_exchange_kernelILj128ELj16ELj16ELN6hipcub21WarpExchangeAlgorithmE0E18BlockedToStripedOpiEvPT4_, .Lfunc_end3-_Z20warp_exchange_kernelILj128ELj16ELj16ELN6hipcub21WarpExchangeAlgorithmE0E18BlockedToStripedOpiEvPT4_
                                        ; -- End function
	.section	.AMDGPU.csdata,"",@progbits
; Kernel info:
; codeLenInByte = 296
; NumSgprs: 11
; NumVgprs: 20
; NumAgprs: 0
; TotalNumVgprs: 20
; ScratchSize: 0
; MemoryBound: 0
; FloatMode: 240
; IeeeMode: 1
; LDSByteSize: 8192 bytes/workgroup (compile time only)
; SGPRBlocks: 1
; VGPRBlocks: 2
; NumSGPRsForWavesPerEU: 11
; NumVGPRsForWavesPerEU: 20
; AccumOffset: 20
; Occupancy: 4
; WaveLimiterHint : 0
; COMPUTE_PGM_RSRC2:SCRATCH_EN: 0
; COMPUTE_PGM_RSRC2:USER_SGPR: 6
; COMPUTE_PGM_RSRC2:TRAP_HANDLER: 0
; COMPUTE_PGM_RSRC2:TGID_X_EN: 1
; COMPUTE_PGM_RSRC2:TGID_Y_EN: 0
; COMPUTE_PGM_RSRC2:TGID_Z_EN: 0
; COMPUTE_PGM_RSRC2:TIDIG_COMP_CNT: 0
; COMPUTE_PGM_RSRC3_GFX90A:ACCUM_OFFSET: 4
; COMPUTE_PGM_RSRC3_GFX90A:TG_SPLIT: 0
	.section	.text._Z20warp_exchange_kernelILj128ELj4ELj32ELN6hipcub21WarpExchangeAlgorithmE0E18StripedToBlockedOpiEvPT4_,"axG",@progbits,_Z20warp_exchange_kernelILj128ELj4ELj32ELN6hipcub21WarpExchangeAlgorithmE0E18StripedToBlockedOpiEvPT4_,comdat
	.protected	_Z20warp_exchange_kernelILj128ELj4ELj32ELN6hipcub21WarpExchangeAlgorithmE0E18StripedToBlockedOpiEvPT4_ ; -- Begin function _Z20warp_exchange_kernelILj128ELj4ELj32ELN6hipcub21WarpExchangeAlgorithmE0E18StripedToBlockedOpiEvPT4_
	.globl	_Z20warp_exchange_kernelILj128ELj4ELj32ELN6hipcub21WarpExchangeAlgorithmE0E18StripedToBlockedOpiEvPT4_
	.p2align	8
	.type	_Z20warp_exchange_kernelILj128ELj4ELj32ELN6hipcub21WarpExchangeAlgorithmE0E18StripedToBlockedOpiEvPT4_,@function
_Z20warp_exchange_kernelILj128ELj4ELj32ELN6hipcub21WarpExchangeAlgorithmE0E18StripedToBlockedOpiEvPT4_: ; @_Z20warp_exchange_kernelILj128ELj4ELj32ELN6hipcub21WarpExchangeAlgorithmE0E18StripedToBlockedOpiEvPT4_
; %bb.0:
	v_mbcnt_lo_u32_b32 v3, -1, 0
	v_mbcnt_hi_u32_b32 v3, -1, v3
	v_and_b32_e32 v3, 31, v3
	v_lshlrev_b32_e32 v2, 4, v0
	v_lshlrev_b32_e32 v5, 2, v3
	s_movk_i32 s2, 0x600
	v_mov_b32_e32 v1, 0
	v_and_or_b32 v2, v2, s2, v5
	v_mov_b32_e32 v5, 1
	s_load_dwordx2 s[0:1], s[4:5], 0x0
	v_mov_b32_e32 v4, 2
	ds_write2_b32 v2, v1, v5 offset1:32
	v_mov_b32_e32 v5, 3
	v_lshlrev_b32_e32 v0, 2, v0
	ds_write2_b32 v2, v4, v5 offset0:64 offset1:96
	v_mad_u32_u24 v2, v3, 12, v2
	v_lshl_or_b32 v0, s6, 9, v0
	; wave barrier
	v_lshlrev_b64 v[4:5], 2, v[0:1]
	ds_read_b128 v[0:3], v2
	s_waitcnt lgkmcnt(0)
	v_mov_b32_e32 v6, s1
	v_add_co_u32_e32 v4, vcc, s0, v4
	v_addc_co_u32_e32 v5, vcc, v6, v5, vcc
	global_store_dwordx4 v[4:5], v[0:3], off
	s_endpgm
	.section	.rodata,"a",@progbits
	.p2align	6, 0x0
	.amdhsa_kernel _Z20warp_exchange_kernelILj128ELj4ELj32ELN6hipcub21WarpExchangeAlgorithmE0E18StripedToBlockedOpiEvPT4_
		.amdhsa_group_segment_fixed_size 2048
		.amdhsa_private_segment_fixed_size 0
		.amdhsa_kernarg_size 8
		.amdhsa_user_sgpr_count 6
		.amdhsa_user_sgpr_private_segment_buffer 1
		.amdhsa_user_sgpr_dispatch_ptr 0
		.amdhsa_user_sgpr_queue_ptr 0
		.amdhsa_user_sgpr_kernarg_segment_ptr 1
		.amdhsa_user_sgpr_dispatch_id 0
		.amdhsa_user_sgpr_flat_scratch_init 0
		.amdhsa_user_sgpr_kernarg_preload_length 0
		.amdhsa_user_sgpr_kernarg_preload_offset 0
		.amdhsa_user_sgpr_private_segment_size 0
		.amdhsa_uses_dynamic_stack 0
		.amdhsa_system_sgpr_private_segment_wavefront_offset 0
		.amdhsa_system_sgpr_workgroup_id_x 1
		.amdhsa_system_sgpr_workgroup_id_y 0
		.amdhsa_system_sgpr_workgroup_id_z 0
		.amdhsa_system_sgpr_workgroup_info 0
		.amdhsa_system_vgpr_workitem_id 0
		.amdhsa_next_free_vgpr 7
		.amdhsa_next_free_sgpr 7
		.amdhsa_accum_offset 8
		.amdhsa_reserve_vcc 1
		.amdhsa_reserve_flat_scratch 0
		.amdhsa_float_round_mode_32 0
		.amdhsa_float_round_mode_16_64 0
		.amdhsa_float_denorm_mode_32 3
		.amdhsa_float_denorm_mode_16_64 3
		.amdhsa_dx10_clamp 1
		.amdhsa_ieee_mode 1
		.amdhsa_fp16_overflow 0
		.amdhsa_tg_split 0
		.amdhsa_exception_fp_ieee_invalid_op 0
		.amdhsa_exception_fp_denorm_src 0
		.amdhsa_exception_fp_ieee_div_zero 0
		.amdhsa_exception_fp_ieee_overflow 0
		.amdhsa_exception_fp_ieee_underflow 0
		.amdhsa_exception_fp_ieee_inexact 0
		.amdhsa_exception_int_div_zero 0
	.end_amdhsa_kernel
	.section	.text._Z20warp_exchange_kernelILj128ELj4ELj32ELN6hipcub21WarpExchangeAlgorithmE0E18StripedToBlockedOpiEvPT4_,"axG",@progbits,_Z20warp_exchange_kernelILj128ELj4ELj32ELN6hipcub21WarpExchangeAlgorithmE0E18StripedToBlockedOpiEvPT4_,comdat
.Lfunc_end4:
	.size	_Z20warp_exchange_kernelILj128ELj4ELj32ELN6hipcub21WarpExchangeAlgorithmE0E18StripedToBlockedOpiEvPT4_, .Lfunc_end4-_Z20warp_exchange_kernelILj128ELj4ELj32ELN6hipcub21WarpExchangeAlgorithmE0E18StripedToBlockedOpiEvPT4_
                                        ; -- End function
	.section	.AMDGPU.csdata,"",@progbits
; Kernel info:
; codeLenInByte = 144
; NumSgprs: 11
; NumVgprs: 7
; NumAgprs: 0
; TotalNumVgprs: 7
; ScratchSize: 0
; MemoryBound: 0
; FloatMode: 240
; IeeeMode: 1
; LDSByteSize: 2048 bytes/workgroup (compile time only)
; SGPRBlocks: 1
; VGPRBlocks: 0
; NumSGPRsForWavesPerEU: 11
; NumVGPRsForWavesPerEU: 7
; AccumOffset: 8
; Occupancy: 8
; WaveLimiterHint : 0
; COMPUTE_PGM_RSRC2:SCRATCH_EN: 0
; COMPUTE_PGM_RSRC2:USER_SGPR: 6
; COMPUTE_PGM_RSRC2:TRAP_HANDLER: 0
; COMPUTE_PGM_RSRC2:TGID_X_EN: 1
; COMPUTE_PGM_RSRC2:TGID_Y_EN: 0
; COMPUTE_PGM_RSRC2:TGID_Z_EN: 0
; COMPUTE_PGM_RSRC2:TIDIG_COMP_CNT: 0
; COMPUTE_PGM_RSRC3_GFX90A:ACCUM_OFFSET: 1
; COMPUTE_PGM_RSRC3_GFX90A:TG_SPLIT: 0
	.section	.text._Z20warp_exchange_kernelILj128ELj4ELj32ELN6hipcub21WarpExchangeAlgorithmE0E18BlockedToStripedOpiEvPT4_,"axG",@progbits,_Z20warp_exchange_kernelILj128ELj4ELj32ELN6hipcub21WarpExchangeAlgorithmE0E18BlockedToStripedOpiEvPT4_,comdat
	.protected	_Z20warp_exchange_kernelILj128ELj4ELj32ELN6hipcub21WarpExchangeAlgorithmE0E18BlockedToStripedOpiEvPT4_ ; -- Begin function _Z20warp_exchange_kernelILj128ELj4ELj32ELN6hipcub21WarpExchangeAlgorithmE0E18BlockedToStripedOpiEvPT4_
	.globl	_Z20warp_exchange_kernelILj128ELj4ELj32ELN6hipcub21WarpExchangeAlgorithmE0E18BlockedToStripedOpiEvPT4_
	.p2align	8
	.type	_Z20warp_exchange_kernelILj128ELj4ELj32ELN6hipcub21WarpExchangeAlgorithmE0E18BlockedToStripedOpiEvPT4_,@function
_Z20warp_exchange_kernelILj128ELj4ELj32ELN6hipcub21WarpExchangeAlgorithmE0E18BlockedToStripedOpiEvPT4_: ; @_Z20warp_exchange_kernelILj128ELj4ELj32ELN6hipcub21WarpExchangeAlgorithmE0E18BlockedToStripedOpiEvPT4_
; %bb.0:
	v_mbcnt_lo_u32_b32 v3, -1, 0
	v_mbcnt_hi_u32_b32 v3, -1, v3
	v_and_b32_e32 v6, 31, v3
	v_lshlrev_b32_e32 v1, 4, v0
	v_lshlrev_b32_e32 v3, 4, v6
	s_movk_i32 s2, 0x600
	s_load_dwordx2 s[0:1], s[4:5], 0x0
	v_mov_b32_e32 v2, 0
	v_and_or_b32 v1, v1, s2, v3
	v_mov_b32_e32 v3, 1
	v_mov_b32_e32 v4, 2
	;; [unrolled: 1-line block ×3, first 2 shown]
	ds_write_b128 v1, v[2:5]
	v_mad_i32_i24 v1, v6, -12, v1
	; wave barrier
	ds_read2_b32 v[4:5], v1 offset1:32
	ds_read2_b32 v[6:7], v1 offset0:64 offset1:96
	v_lshlrev_b32_e32 v0, 2, v0
	v_lshl_or_b32 v0, s6, 9, v0
	v_mov_b32_e32 v1, v2
	v_lshlrev_b64 v[0:1], 2, v[0:1]
	s_waitcnt lgkmcnt(0)
	v_mov_b32_e32 v2, s1
	v_add_co_u32_e32 v0, vcc, s0, v0
	v_addc_co_u32_e32 v1, vcc, v2, v1, vcc
	global_store_dwordx4 v[0:1], v[4:7], off
	s_endpgm
	.section	.rodata,"a",@progbits
	.p2align	6, 0x0
	.amdhsa_kernel _Z20warp_exchange_kernelILj128ELj4ELj32ELN6hipcub21WarpExchangeAlgorithmE0E18BlockedToStripedOpiEvPT4_
		.amdhsa_group_segment_fixed_size 2048
		.amdhsa_private_segment_fixed_size 0
		.amdhsa_kernarg_size 8
		.amdhsa_user_sgpr_count 6
		.amdhsa_user_sgpr_private_segment_buffer 1
		.amdhsa_user_sgpr_dispatch_ptr 0
		.amdhsa_user_sgpr_queue_ptr 0
		.amdhsa_user_sgpr_kernarg_segment_ptr 1
		.amdhsa_user_sgpr_dispatch_id 0
		.amdhsa_user_sgpr_flat_scratch_init 0
		.amdhsa_user_sgpr_kernarg_preload_length 0
		.amdhsa_user_sgpr_kernarg_preload_offset 0
		.amdhsa_user_sgpr_private_segment_size 0
		.amdhsa_uses_dynamic_stack 0
		.amdhsa_system_sgpr_private_segment_wavefront_offset 0
		.amdhsa_system_sgpr_workgroup_id_x 1
		.amdhsa_system_sgpr_workgroup_id_y 0
		.amdhsa_system_sgpr_workgroup_id_z 0
		.amdhsa_system_sgpr_workgroup_info 0
		.amdhsa_system_vgpr_workitem_id 0
		.amdhsa_next_free_vgpr 8
		.amdhsa_next_free_sgpr 7
		.amdhsa_accum_offset 8
		.amdhsa_reserve_vcc 1
		.amdhsa_reserve_flat_scratch 0
		.amdhsa_float_round_mode_32 0
		.amdhsa_float_round_mode_16_64 0
		.amdhsa_float_denorm_mode_32 3
		.amdhsa_float_denorm_mode_16_64 3
		.amdhsa_dx10_clamp 1
		.amdhsa_ieee_mode 1
		.amdhsa_fp16_overflow 0
		.amdhsa_tg_split 0
		.amdhsa_exception_fp_ieee_invalid_op 0
		.amdhsa_exception_fp_denorm_src 0
		.amdhsa_exception_fp_ieee_div_zero 0
		.amdhsa_exception_fp_ieee_overflow 0
		.amdhsa_exception_fp_ieee_underflow 0
		.amdhsa_exception_fp_ieee_inexact 0
		.amdhsa_exception_int_div_zero 0
	.end_amdhsa_kernel
	.section	.text._Z20warp_exchange_kernelILj128ELj4ELj32ELN6hipcub21WarpExchangeAlgorithmE0E18BlockedToStripedOpiEvPT4_,"axG",@progbits,_Z20warp_exchange_kernelILj128ELj4ELj32ELN6hipcub21WarpExchangeAlgorithmE0E18BlockedToStripedOpiEvPT4_,comdat
.Lfunc_end5:
	.size	_Z20warp_exchange_kernelILj128ELj4ELj32ELN6hipcub21WarpExchangeAlgorithmE0E18BlockedToStripedOpiEvPT4_, .Lfunc_end5-_Z20warp_exchange_kernelILj128ELj4ELj32ELN6hipcub21WarpExchangeAlgorithmE0E18BlockedToStripedOpiEvPT4_
                                        ; -- End function
	.section	.AMDGPU.csdata,"",@progbits
; Kernel info:
; codeLenInByte = 148
; NumSgprs: 11
; NumVgprs: 8
; NumAgprs: 0
; TotalNumVgprs: 8
; ScratchSize: 0
; MemoryBound: 0
; FloatMode: 240
; IeeeMode: 1
; LDSByteSize: 2048 bytes/workgroup (compile time only)
; SGPRBlocks: 1
; VGPRBlocks: 0
; NumSGPRsForWavesPerEU: 11
; NumVGPRsForWavesPerEU: 8
; AccumOffset: 8
; Occupancy: 8
; WaveLimiterHint : 0
; COMPUTE_PGM_RSRC2:SCRATCH_EN: 0
; COMPUTE_PGM_RSRC2:USER_SGPR: 6
; COMPUTE_PGM_RSRC2:TRAP_HANDLER: 0
; COMPUTE_PGM_RSRC2:TGID_X_EN: 1
; COMPUTE_PGM_RSRC2:TGID_Y_EN: 0
; COMPUTE_PGM_RSRC2:TGID_Z_EN: 0
; COMPUTE_PGM_RSRC2:TIDIG_COMP_CNT: 0
; COMPUTE_PGM_RSRC3_GFX90A:ACCUM_OFFSET: 1
; COMPUTE_PGM_RSRC3_GFX90A:TG_SPLIT: 0
	.section	.text._Z20warp_exchange_kernelILj256ELj4ELj32ELN6hipcub21WarpExchangeAlgorithmE0E18StripedToBlockedOpiEvPT4_,"axG",@progbits,_Z20warp_exchange_kernelILj256ELj4ELj32ELN6hipcub21WarpExchangeAlgorithmE0E18StripedToBlockedOpiEvPT4_,comdat
	.protected	_Z20warp_exchange_kernelILj256ELj4ELj32ELN6hipcub21WarpExchangeAlgorithmE0E18StripedToBlockedOpiEvPT4_ ; -- Begin function _Z20warp_exchange_kernelILj256ELj4ELj32ELN6hipcub21WarpExchangeAlgorithmE0E18StripedToBlockedOpiEvPT4_
	.globl	_Z20warp_exchange_kernelILj256ELj4ELj32ELN6hipcub21WarpExchangeAlgorithmE0E18StripedToBlockedOpiEvPT4_
	.p2align	8
	.type	_Z20warp_exchange_kernelILj256ELj4ELj32ELN6hipcub21WarpExchangeAlgorithmE0E18StripedToBlockedOpiEvPT4_,@function
_Z20warp_exchange_kernelILj256ELj4ELj32ELN6hipcub21WarpExchangeAlgorithmE0E18StripedToBlockedOpiEvPT4_: ; @_Z20warp_exchange_kernelILj256ELj4ELj32ELN6hipcub21WarpExchangeAlgorithmE0E18StripedToBlockedOpiEvPT4_
; %bb.0:
	v_mbcnt_lo_u32_b32 v3, -1, 0
	v_mbcnt_hi_u32_b32 v3, -1, v3
	v_and_b32_e32 v3, 31, v3
	v_lshlrev_b32_e32 v2, 4, v0
	v_lshlrev_b32_e32 v5, 2, v3
	s_movk_i32 s2, 0xe00
	v_mov_b32_e32 v1, 0
	v_and_or_b32 v2, v2, s2, v5
	v_mov_b32_e32 v5, 1
	s_load_dwordx2 s[0:1], s[4:5], 0x0
	v_mov_b32_e32 v4, 2
	ds_write2_b32 v2, v1, v5 offset1:32
	v_mov_b32_e32 v5, 3
	v_lshlrev_b32_e32 v0, 2, v0
	ds_write2_b32 v2, v4, v5 offset0:64 offset1:96
	v_mad_u32_u24 v2, v3, 12, v2
	v_lshl_or_b32 v0, s6, 10, v0
	; wave barrier
	v_lshlrev_b64 v[4:5], 2, v[0:1]
	ds_read_b128 v[0:3], v2
	s_waitcnt lgkmcnt(0)
	v_mov_b32_e32 v6, s1
	v_add_co_u32_e32 v4, vcc, s0, v4
	v_addc_co_u32_e32 v5, vcc, v6, v5, vcc
	global_store_dwordx4 v[4:5], v[0:3], off
	s_endpgm
	.section	.rodata,"a",@progbits
	.p2align	6, 0x0
	.amdhsa_kernel _Z20warp_exchange_kernelILj256ELj4ELj32ELN6hipcub21WarpExchangeAlgorithmE0E18StripedToBlockedOpiEvPT4_
		.amdhsa_group_segment_fixed_size 4096
		.amdhsa_private_segment_fixed_size 0
		.amdhsa_kernarg_size 8
		.amdhsa_user_sgpr_count 6
		.amdhsa_user_sgpr_private_segment_buffer 1
		.amdhsa_user_sgpr_dispatch_ptr 0
		.amdhsa_user_sgpr_queue_ptr 0
		.amdhsa_user_sgpr_kernarg_segment_ptr 1
		.amdhsa_user_sgpr_dispatch_id 0
		.amdhsa_user_sgpr_flat_scratch_init 0
		.amdhsa_user_sgpr_kernarg_preload_length 0
		.amdhsa_user_sgpr_kernarg_preload_offset 0
		.amdhsa_user_sgpr_private_segment_size 0
		.amdhsa_uses_dynamic_stack 0
		.amdhsa_system_sgpr_private_segment_wavefront_offset 0
		.amdhsa_system_sgpr_workgroup_id_x 1
		.amdhsa_system_sgpr_workgroup_id_y 0
		.amdhsa_system_sgpr_workgroup_id_z 0
		.amdhsa_system_sgpr_workgroup_info 0
		.amdhsa_system_vgpr_workitem_id 0
		.amdhsa_next_free_vgpr 7
		.amdhsa_next_free_sgpr 7
		.amdhsa_accum_offset 8
		.amdhsa_reserve_vcc 1
		.amdhsa_reserve_flat_scratch 0
		.amdhsa_float_round_mode_32 0
		.amdhsa_float_round_mode_16_64 0
		.amdhsa_float_denorm_mode_32 3
		.amdhsa_float_denorm_mode_16_64 3
		.amdhsa_dx10_clamp 1
		.amdhsa_ieee_mode 1
		.amdhsa_fp16_overflow 0
		.amdhsa_tg_split 0
		.amdhsa_exception_fp_ieee_invalid_op 0
		.amdhsa_exception_fp_denorm_src 0
		.amdhsa_exception_fp_ieee_div_zero 0
		.amdhsa_exception_fp_ieee_overflow 0
		.amdhsa_exception_fp_ieee_underflow 0
		.amdhsa_exception_fp_ieee_inexact 0
		.amdhsa_exception_int_div_zero 0
	.end_amdhsa_kernel
	.section	.text._Z20warp_exchange_kernelILj256ELj4ELj32ELN6hipcub21WarpExchangeAlgorithmE0E18StripedToBlockedOpiEvPT4_,"axG",@progbits,_Z20warp_exchange_kernelILj256ELj4ELj32ELN6hipcub21WarpExchangeAlgorithmE0E18StripedToBlockedOpiEvPT4_,comdat
.Lfunc_end6:
	.size	_Z20warp_exchange_kernelILj256ELj4ELj32ELN6hipcub21WarpExchangeAlgorithmE0E18StripedToBlockedOpiEvPT4_, .Lfunc_end6-_Z20warp_exchange_kernelILj256ELj4ELj32ELN6hipcub21WarpExchangeAlgorithmE0E18StripedToBlockedOpiEvPT4_
                                        ; -- End function
	.section	.AMDGPU.csdata,"",@progbits
; Kernel info:
; codeLenInByte = 144
; NumSgprs: 11
; NumVgprs: 7
; NumAgprs: 0
; TotalNumVgprs: 7
; ScratchSize: 0
; MemoryBound: 0
; FloatMode: 240
; IeeeMode: 1
; LDSByteSize: 4096 bytes/workgroup (compile time only)
; SGPRBlocks: 1
; VGPRBlocks: 0
; NumSGPRsForWavesPerEU: 11
; NumVGPRsForWavesPerEU: 7
; AccumOffset: 8
; Occupancy: 8
; WaveLimiterHint : 0
; COMPUTE_PGM_RSRC2:SCRATCH_EN: 0
; COMPUTE_PGM_RSRC2:USER_SGPR: 6
; COMPUTE_PGM_RSRC2:TRAP_HANDLER: 0
; COMPUTE_PGM_RSRC2:TGID_X_EN: 1
; COMPUTE_PGM_RSRC2:TGID_Y_EN: 0
; COMPUTE_PGM_RSRC2:TGID_Z_EN: 0
; COMPUTE_PGM_RSRC2:TIDIG_COMP_CNT: 0
; COMPUTE_PGM_RSRC3_GFX90A:ACCUM_OFFSET: 1
; COMPUTE_PGM_RSRC3_GFX90A:TG_SPLIT: 0
	.section	.text._Z20warp_exchange_kernelILj256ELj4ELj32ELN6hipcub21WarpExchangeAlgorithmE0E18BlockedToStripedOpiEvPT4_,"axG",@progbits,_Z20warp_exchange_kernelILj256ELj4ELj32ELN6hipcub21WarpExchangeAlgorithmE0E18BlockedToStripedOpiEvPT4_,comdat
	.protected	_Z20warp_exchange_kernelILj256ELj4ELj32ELN6hipcub21WarpExchangeAlgorithmE0E18BlockedToStripedOpiEvPT4_ ; -- Begin function _Z20warp_exchange_kernelILj256ELj4ELj32ELN6hipcub21WarpExchangeAlgorithmE0E18BlockedToStripedOpiEvPT4_
	.globl	_Z20warp_exchange_kernelILj256ELj4ELj32ELN6hipcub21WarpExchangeAlgorithmE0E18BlockedToStripedOpiEvPT4_
	.p2align	8
	.type	_Z20warp_exchange_kernelILj256ELj4ELj32ELN6hipcub21WarpExchangeAlgorithmE0E18BlockedToStripedOpiEvPT4_,@function
_Z20warp_exchange_kernelILj256ELj4ELj32ELN6hipcub21WarpExchangeAlgorithmE0E18BlockedToStripedOpiEvPT4_: ; @_Z20warp_exchange_kernelILj256ELj4ELj32ELN6hipcub21WarpExchangeAlgorithmE0E18BlockedToStripedOpiEvPT4_
; %bb.0:
	v_mbcnt_lo_u32_b32 v3, -1, 0
	v_mbcnt_hi_u32_b32 v3, -1, v3
	v_and_b32_e32 v6, 31, v3
	v_lshlrev_b32_e32 v1, 4, v0
	v_lshlrev_b32_e32 v3, 4, v6
	s_movk_i32 s2, 0xe00
	s_load_dwordx2 s[0:1], s[4:5], 0x0
	v_mov_b32_e32 v2, 0
	v_and_or_b32 v1, v1, s2, v3
	v_mov_b32_e32 v3, 1
	v_mov_b32_e32 v4, 2
	;; [unrolled: 1-line block ×3, first 2 shown]
	ds_write_b128 v1, v[2:5]
	v_mad_i32_i24 v1, v6, -12, v1
	; wave barrier
	ds_read2_b32 v[4:5], v1 offset1:32
	ds_read2_b32 v[6:7], v1 offset0:64 offset1:96
	v_lshlrev_b32_e32 v0, 2, v0
	v_lshl_or_b32 v0, s6, 10, v0
	v_mov_b32_e32 v1, v2
	v_lshlrev_b64 v[0:1], 2, v[0:1]
	s_waitcnt lgkmcnt(0)
	v_mov_b32_e32 v2, s1
	v_add_co_u32_e32 v0, vcc, s0, v0
	v_addc_co_u32_e32 v1, vcc, v2, v1, vcc
	global_store_dwordx4 v[0:1], v[4:7], off
	s_endpgm
	.section	.rodata,"a",@progbits
	.p2align	6, 0x0
	.amdhsa_kernel _Z20warp_exchange_kernelILj256ELj4ELj32ELN6hipcub21WarpExchangeAlgorithmE0E18BlockedToStripedOpiEvPT4_
		.amdhsa_group_segment_fixed_size 4096
		.amdhsa_private_segment_fixed_size 0
		.amdhsa_kernarg_size 8
		.amdhsa_user_sgpr_count 6
		.amdhsa_user_sgpr_private_segment_buffer 1
		.amdhsa_user_sgpr_dispatch_ptr 0
		.amdhsa_user_sgpr_queue_ptr 0
		.amdhsa_user_sgpr_kernarg_segment_ptr 1
		.amdhsa_user_sgpr_dispatch_id 0
		.amdhsa_user_sgpr_flat_scratch_init 0
		.amdhsa_user_sgpr_kernarg_preload_length 0
		.amdhsa_user_sgpr_kernarg_preload_offset 0
		.amdhsa_user_sgpr_private_segment_size 0
		.amdhsa_uses_dynamic_stack 0
		.amdhsa_system_sgpr_private_segment_wavefront_offset 0
		.amdhsa_system_sgpr_workgroup_id_x 1
		.amdhsa_system_sgpr_workgroup_id_y 0
		.amdhsa_system_sgpr_workgroup_id_z 0
		.amdhsa_system_sgpr_workgroup_info 0
		.amdhsa_system_vgpr_workitem_id 0
		.amdhsa_next_free_vgpr 8
		.amdhsa_next_free_sgpr 7
		.amdhsa_accum_offset 8
		.amdhsa_reserve_vcc 1
		.amdhsa_reserve_flat_scratch 0
		.amdhsa_float_round_mode_32 0
		.amdhsa_float_round_mode_16_64 0
		.amdhsa_float_denorm_mode_32 3
		.amdhsa_float_denorm_mode_16_64 3
		.amdhsa_dx10_clamp 1
		.amdhsa_ieee_mode 1
		.amdhsa_fp16_overflow 0
		.amdhsa_tg_split 0
		.amdhsa_exception_fp_ieee_invalid_op 0
		.amdhsa_exception_fp_denorm_src 0
		.amdhsa_exception_fp_ieee_div_zero 0
		.amdhsa_exception_fp_ieee_overflow 0
		.amdhsa_exception_fp_ieee_underflow 0
		.amdhsa_exception_fp_ieee_inexact 0
		.amdhsa_exception_int_div_zero 0
	.end_amdhsa_kernel
	.section	.text._Z20warp_exchange_kernelILj256ELj4ELj32ELN6hipcub21WarpExchangeAlgorithmE0E18BlockedToStripedOpiEvPT4_,"axG",@progbits,_Z20warp_exchange_kernelILj256ELj4ELj32ELN6hipcub21WarpExchangeAlgorithmE0E18BlockedToStripedOpiEvPT4_,comdat
.Lfunc_end7:
	.size	_Z20warp_exchange_kernelILj256ELj4ELj32ELN6hipcub21WarpExchangeAlgorithmE0E18BlockedToStripedOpiEvPT4_, .Lfunc_end7-_Z20warp_exchange_kernelILj256ELj4ELj32ELN6hipcub21WarpExchangeAlgorithmE0E18BlockedToStripedOpiEvPT4_
                                        ; -- End function
	.section	.AMDGPU.csdata,"",@progbits
; Kernel info:
; codeLenInByte = 148
; NumSgprs: 11
; NumVgprs: 8
; NumAgprs: 0
; TotalNumVgprs: 8
; ScratchSize: 0
; MemoryBound: 0
; FloatMode: 240
; IeeeMode: 1
; LDSByteSize: 4096 bytes/workgroup (compile time only)
; SGPRBlocks: 1
; VGPRBlocks: 0
; NumSGPRsForWavesPerEU: 11
; NumVGPRsForWavesPerEU: 8
; AccumOffset: 8
; Occupancy: 8
; WaveLimiterHint : 0
; COMPUTE_PGM_RSRC2:SCRATCH_EN: 0
; COMPUTE_PGM_RSRC2:USER_SGPR: 6
; COMPUTE_PGM_RSRC2:TRAP_HANDLER: 0
; COMPUTE_PGM_RSRC2:TGID_X_EN: 1
; COMPUTE_PGM_RSRC2:TGID_Y_EN: 0
; COMPUTE_PGM_RSRC2:TGID_Z_EN: 0
; COMPUTE_PGM_RSRC2:TIDIG_COMP_CNT: 0
; COMPUTE_PGM_RSRC3_GFX90A:ACCUM_OFFSET: 1
; COMPUTE_PGM_RSRC3_GFX90A:TG_SPLIT: 0
	.section	.text._Z39warp_exchange_scatter_to_striped_kernelIiLj128ELj4ELj16EiEvPT3_,"axG",@progbits,_Z39warp_exchange_scatter_to_striped_kernelIiLj128ELj4ELj16EiEvPT3_,comdat
	.protected	_Z39warp_exchange_scatter_to_striped_kernelIiLj128ELj4ELj16EiEvPT3_ ; -- Begin function _Z39warp_exchange_scatter_to_striped_kernelIiLj128ELj4ELj16EiEvPT3_
	.globl	_Z39warp_exchange_scatter_to_striped_kernelIiLj128ELj4ELj16EiEvPT3_
	.p2align	8
	.type	_Z39warp_exchange_scatter_to_striped_kernelIiLj128ELj4ELj16EiEvPT3_,@function
_Z39warp_exchange_scatter_to_striped_kernelIiLj128ELj4ELj16EiEvPT3_: ; @_Z39warp_exchange_scatter_to_striped_kernelIiLj128ELj4ELj16EiEvPT3_
; %bb.0:
	v_lshlrev_b32_e32 v1, 4, v0
	v_mbcnt_lo_u32_b32 v2, -1, 0
	v_and_b32_e32 v1, 0x700, v1
	v_mbcnt_hi_u32_b32 v6, -1, v2
	v_and_b32_e32 v2, 0x70, v0
	s_load_dwordx2 s[0:1], s[4:5], 0x0
	v_mov_b32_e32 v5, 0
	v_sub_u32_e32 v7, v1, v2
	v_mov_b32_e32 v2, 3
	v_mov_b32_e32 v3, 2
	;; [unrolled: 1-line block ×3, first 2 shown]
	ds_write_b128 v7, v[2:5] offset:48
	v_and_b32_e32 v2, 15, v6
	v_lshl_or_b32 v1, v2, 2, v1
	; wave barrier
	ds_read2_b32 v[2:3], v1 offset1:16
	ds_read2_b32 v[6:7], v1 offset0:32 offset1:48
	v_lshl_or_b32 v4, s6, 9, v0
	v_lshlrev_b64 v[0:1], 2, v[4:5]
	s_waitcnt lgkmcnt(0)
	v_mov_b32_e32 v8, s1
	v_add_co_u32_e32 v0, vcc, s0, v0
	v_addc_co_u32_e32 v1, vcc, v8, v1, vcc
	global_store_dword v[0:1], v2, off
	v_or_b32_e32 v0, 0x80, v4
	v_mov_b32_e32 v1, v5
	v_lshlrev_b64 v[0:1], 2, v[0:1]
	v_add_co_u32_e32 v0, vcc, s0, v0
	v_addc_co_u32_e32 v1, vcc, v8, v1, vcc
	global_store_dword v[0:1], v3, off
	v_or_b32_e32 v0, 0x100, v4
	v_mov_b32_e32 v1, v5
	v_lshlrev_b64 v[0:1], 2, v[0:1]
	v_add_co_u32_e32 v0, vcc, s0, v0
	v_addc_co_u32_e32 v1, vcc, v8, v1, vcc
	v_or_b32_e32 v4, 0x180, v4
	global_store_dword v[0:1], v6, off
	v_lshlrev_b64 v[0:1], 2, v[4:5]
	v_add_co_u32_e32 v0, vcc, s0, v0
	v_addc_co_u32_e32 v1, vcc, v8, v1, vcc
	global_store_dword v[0:1], v7, off
	s_endpgm
	.section	.rodata,"a",@progbits
	.p2align	6, 0x0
	.amdhsa_kernel _Z39warp_exchange_scatter_to_striped_kernelIiLj128ELj4ELj16EiEvPT3_
		.amdhsa_group_segment_fixed_size 2048
		.amdhsa_private_segment_fixed_size 0
		.amdhsa_kernarg_size 8
		.amdhsa_user_sgpr_count 6
		.amdhsa_user_sgpr_private_segment_buffer 1
		.amdhsa_user_sgpr_dispatch_ptr 0
		.amdhsa_user_sgpr_queue_ptr 0
		.amdhsa_user_sgpr_kernarg_segment_ptr 1
		.amdhsa_user_sgpr_dispatch_id 0
		.amdhsa_user_sgpr_flat_scratch_init 0
		.amdhsa_user_sgpr_kernarg_preload_length 0
		.amdhsa_user_sgpr_kernarg_preload_offset 0
		.amdhsa_user_sgpr_private_segment_size 0
		.amdhsa_uses_dynamic_stack 0
		.amdhsa_system_sgpr_private_segment_wavefront_offset 0
		.amdhsa_system_sgpr_workgroup_id_x 1
		.amdhsa_system_sgpr_workgroup_id_y 0
		.amdhsa_system_sgpr_workgroup_id_z 0
		.amdhsa_system_sgpr_workgroup_info 0
		.amdhsa_system_vgpr_workitem_id 0
		.amdhsa_next_free_vgpr 9
		.amdhsa_next_free_sgpr 7
		.amdhsa_accum_offset 12
		.amdhsa_reserve_vcc 1
		.amdhsa_reserve_flat_scratch 0
		.amdhsa_float_round_mode_32 0
		.amdhsa_float_round_mode_16_64 0
		.amdhsa_float_denorm_mode_32 3
		.amdhsa_float_denorm_mode_16_64 3
		.amdhsa_dx10_clamp 1
		.amdhsa_ieee_mode 1
		.amdhsa_fp16_overflow 0
		.amdhsa_tg_split 0
		.amdhsa_exception_fp_ieee_invalid_op 0
		.amdhsa_exception_fp_denorm_src 0
		.amdhsa_exception_fp_ieee_div_zero 0
		.amdhsa_exception_fp_ieee_overflow 0
		.amdhsa_exception_fp_ieee_underflow 0
		.amdhsa_exception_fp_ieee_inexact 0
		.amdhsa_exception_int_div_zero 0
	.end_amdhsa_kernel
	.section	.text._Z39warp_exchange_scatter_to_striped_kernelIiLj128ELj4ELj16EiEvPT3_,"axG",@progbits,_Z39warp_exchange_scatter_to_striped_kernelIiLj128ELj4ELj16EiEvPT3_,comdat
.Lfunc_end8:
	.size	_Z39warp_exchange_scatter_to_striped_kernelIiLj128ELj4ELj16EiEvPT3_, .Lfunc_end8-_Z39warp_exchange_scatter_to_striped_kernelIiLj128ELj4ELj16EiEvPT3_
                                        ; -- End function
	.section	.AMDGPU.csdata,"",@progbits
; Kernel info:
; codeLenInByte = 248
; NumSgprs: 11
; NumVgprs: 9
; NumAgprs: 0
; TotalNumVgprs: 9
; ScratchSize: 0
; MemoryBound: 0
; FloatMode: 240
; IeeeMode: 1
; LDSByteSize: 2048 bytes/workgroup (compile time only)
; SGPRBlocks: 1
; VGPRBlocks: 1
; NumSGPRsForWavesPerEU: 11
; NumVGPRsForWavesPerEU: 9
; AccumOffset: 12
; Occupancy: 8
; WaveLimiterHint : 0
; COMPUTE_PGM_RSRC2:SCRATCH_EN: 0
; COMPUTE_PGM_RSRC2:USER_SGPR: 6
; COMPUTE_PGM_RSRC2:TRAP_HANDLER: 0
; COMPUTE_PGM_RSRC2:TGID_X_EN: 1
; COMPUTE_PGM_RSRC2:TGID_Y_EN: 0
; COMPUTE_PGM_RSRC2:TGID_Z_EN: 0
; COMPUTE_PGM_RSRC2:TIDIG_COMP_CNT: 0
; COMPUTE_PGM_RSRC3_GFX90A:ACCUM_OFFSET: 2
; COMPUTE_PGM_RSRC3_GFX90A:TG_SPLIT: 0
	.section	.text._Z39warp_exchange_scatter_to_striped_kernelIiLj128ELj4ELj32EiEvPT3_,"axG",@progbits,_Z39warp_exchange_scatter_to_striped_kernelIiLj128ELj4ELj32EiEvPT3_,comdat
	.protected	_Z39warp_exchange_scatter_to_striped_kernelIiLj128ELj4ELj32EiEvPT3_ ; -- Begin function _Z39warp_exchange_scatter_to_striped_kernelIiLj128ELj4ELj32EiEvPT3_
	.globl	_Z39warp_exchange_scatter_to_striped_kernelIiLj128ELj4ELj32EiEvPT3_
	.p2align	8
	.type	_Z39warp_exchange_scatter_to_striped_kernelIiLj128ELj4ELj32EiEvPT3_,@function
_Z39warp_exchange_scatter_to_striped_kernelIiLj128ELj4ELj32EiEvPT3_: ; @_Z39warp_exchange_scatter_to_striped_kernelIiLj128ELj4ELj32EiEvPT3_
; %bb.0:
	v_lshrrev_b32_e32 v1, 5, v0
	v_lshlrev_b32_e32 v6, 9, v1
	v_mbcnt_lo_u32_b32 v2, -1, 0
	v_lshlrev_b32_e32 v1, 4, v1
	s_load_dwordx2 s[0:1], s[4:5], 0x0
	v_mov_b32_e32 v5, 0
	v_mbcnt_hi_u32_b32 v7, -1, v2
	v_sub_u32_e32 v1, v6, v1
	v_mov_b32_e32 v2, 3
	v_mov_b32_e32 v3, 2
	;; [unrolled: 1-line block ×3, first 2 shown]
	ds_write_b128 v1, v[2:5] offset:112
	v_and_b32_e32 v1, 31, v7
	v_lshl_or_b32 v1, v1, 2, v6
	; wave barrier
	ds_read2_b32 v[2:3], v1 offset1:32
	ds_read2_b32 v[6:7], v1 offset0:64 offset1:96
	v_lshl_or_b32 v4, s6, 9, v0
	v_lshlrev_b64 v[0:1], 2, v[4:5]
	s_waitcnt lgkmcnt(0)
	v_mov_b32_e32 v8, s1
	v_add_co_u32_e32 v0, vcc, s0, v0
	v_addc_co_u32_e32 v1, vcc, v8, v1, vcc
	global_store_dword v[0:1], v2, off
	v_or_b32_e32 v0, 0x80, v4
	v_mov_b32_e32 v1, v5
	v_lshlrev_b64 v[0:1], 2, v[0:1]
	v_add_co_u32_e32 v0, vcc, s0, v0
	v_addc_co_u32_e32 v1, vcc, v8, v1, vcc
	global_store_dword v[0:1], v3, off
	v_or_b32_e32 v0, 0x100, v4
	v_mov_b32_e32 v1, v5
	v_lshlrev_b64 v[0:1], 2, v[0:1]
	v_add_co_u32_e32 v0, vcc, s0, v0
	v_addc_co_u32_e32 v1, vcc, v8, v1, vcc
	v_or_b32_e32 v4, 0x180, v4
	global_store_dword v[0:1], v6, off
	v_lshlrev_b64 v[0:1], 2, v[4:5]
	v_add_co_u32_e32 v0, vcc, s0, v0
	v_addc_co_u32_e32 v1, vcc, v8, v1, vcc
	global_store_dword v[0:1], v7, off
	s_endpgm
	.section	.rodata,"a",@progbits
	.p2align	6, 0x0
	.amdhsa_kernel _Z39warp_exchange_scatter_to_striped_kernelIiLj128ELj4ELj32EiEvPT3_
		.amdhsa_group_segment_fixed_size 2048
		.amdhsa_private_segment_fixed_size 0
		.amdhsa_kernarg_size 8
		.amdhsa_user_sgpr_count 6
		.amdhsa_user_sgpr_private_segment_buffer 1
		.amdhsa_user_sgpr_dispatch_ptr 0
		.amdhsa_user_sgpr_queue_ptr 0
		.amdhsa_user_sgpr_kernarg_segment_ptr 1
		.amdhsa_user_sgpr_dispatch_id 0
		.amdhsa_user_sgpr_flat_scratch_init 0
		.amdhsa_user_sgpr_kernarg_preload_length 0
		.amdhsa_user_sgpr_kernarg_preload_offset 0
		.amdhsa_user_sgpr_private_segment_size 0
		.amdhsa_uses_dynamic_stack 0
		.amdhsa_system_sgpr_private_segment_wavefront_offset 0
		.amdhsa_system_sgpr_workgroup_id_x 1
		.amdhsa_system_sgpr_workgroup_id_y 0
		.amdhsa_system_sgpr_workgroup_id_z 0
		.amdhsa_system_sgpr_workgroup_info 0
		.amdhsa_system_vgpr_workitem_id 0
		.amdhsa_next_free_vgpr 9
		.amdhsa_next_free_sgpr 7
		.amdhsa_accum_offset 12
		.amdhsa_reserve_vcc 1
		.amdhsa_reserve_flat_scratch 0
		.amdhsa_float_round_mode_32 0
		.amdhsa_float_round_mode_16_64 0
		.amdhsa_float_denorm_mode_32 3
		.amdhsa_float_denorm_mode_16_64 3
		.amdhsa_dx10_clamp 1
		.amdhsa_ieee_mode 1
		.amdhsa_fp16_overflow 0
		.amdhsa_tg_split 0
		.amdhsa_exception_fp_ieee_invalid_op 0
		.amdhsa_exception_fp_denorm_src 0
		.amdhsa_exception_fp_ieee_div_zero 0
		.amdhsa_exception_fp_ieee_overflow 0
		.amdhsa_exception_fp_ieee_underflow 0
		.amdhsa_exception_fp_ieee_inexact 0
		.amdhsa_exception_int_div_zero 0
	.end_amdhsa_kernel
	.section	.text._Z39warp_exchange_scatter_to_striped_kernelIiLj128ELj4ELj32EiEvPT3_,"axG",@progbits,_Z39warp_exchange_scatter_to_striped_kernelIiLj128ELj4ELj32EiEvPT3_,comdat
.Lfunc_end9:
	.size	_Z39warp_exchange_scatter_to_striped_kernelIiLj128ELj4ELj32EiEvPT3_, .Lfunc_end9-_Z39warp_exchange_scatter_to_striped_kernelIiLj128ELj4ELj32EiEvPT3_
                                        ; -- End function
	.section	.AMDGPU.csdata,"",@progbits
; Kernel info:
; codeLenInByte = 240
; NumSgprs: 11
; NumVgprs: 9
; NumAgprs: 0
; TotalNumVgprs: 9
; ScratchSize: 0
; MemoryBound: 0
; FloatMode: 240
; IeeeMode: 1
; LDSByteSize: 2048 bytes/workgroup (compile time only)
; SGPRBlocks: 1
; VGPRBlocks: 1
; NumSGPRsForWavesPerEU: 11
; NumVGPRsForWavesPerEU: 9
; AccumOffset: 12
; Occupancy: 8
; WaveLimiterHint : 0
; COMPUTE_PGM_RSRC2:SCRATCH_EN: 0
; COMPUTE_PGM_RSRC2:USER_SGPR: 6
; COMPUTE_PGM_RSRC2:TRAP_HANDLER: 0
; COMPUTE_PGM_RSRC2:TGID_X_EN: 1
; COMPUTE_PGM_RSRC2:TGID_Y_EN: 0
; COMPUTE_PGM_RSRC2:TGID_Z_EN: 0
; COMPUTE_PGM_RSRC2:TIDIG_COMP_CNT: 0
; COMPUTE_PGM_RSRC3_GFX90A:ACCUM_OFFSET: 2
; COMPUTE_PGM_RSRC3_GFX90A:TG_SPLIT: 0
	.section	.text._Z39warp_exchange_scatter_to_striped_kernelIiLj256ELj4ELj32EiEvPT3_,"axG",@progbits,_Z39warp_exchange_scatter_to_striped_kernelIiLj256ELj4ELj32EiEvPT3_,comdat
	.protected	_Z39warp_exchange_scatter_to_striped_kernelIiLj256ELj4ELj32EiEvPT3_ ; -- Begin function _Z39warp_exchange_scatter_to_striped_kernelIiLj256ELj4ELj32EiEvPT3_
	.globl	_Z39warp_exchange_scatter_to_striped_kernelIiLj256ELj4ELj32EiEvPT3_
	.p2align	8
	.type	_Z39warp_exchange_scatter_to_striped_kernelIiLj256ELj4ELj32EiEvPT3_,@function
_Z39warp_exchange_scatter_to_striped_kernelIiLj256ELj4ELj32EiEvPT3_: ; @_Z39warp_exchange_scatter_to_striped_kernelIiLj256ELj4ELj32EiEvPT3_
; %bb.0:
	v_lshrrev_b32_e32 v1, 5, v0
	v_lshlrev_b32_e32 v6, 9, v1
	v_mbcnt_lo_u32_b32 v2, -1, 0
	v_lshlrev_b32_e32 v1, 4, v1
	s_load_dwordx2 s[0:1], s[4:5], 0x0
	v_mov_b32_e32 v5, 0
	v_mbcnt_hi_u32_b32 v7, -1, v2
	v_sub_u32_e32 v1, v6, v1
	v_mov_b32_e32 v2, 3
	v_mov_b32_e32 v3, 2
	;; [unrolled: 1-line block ×3, first 2 shown]
	ds_write_b128 v1, v[2:5] offset:112
	v_and_b32_e32 v1, 31, v7
	v_lshl_or_b32 v1, v1, 2, v6
	; wave barrier
	ds_read2_b32 v[2:3], v1 offset1:32
	ds_read2_b32 v[6:7], v1 offset0:64 offset1:96
	v_lshl_or_b32 v4, s6, 10, v0
	v_lshlrev_b64 v[0:1], 2, v[4:5]
	s_waitcnt lgkmcnt(0)
	v_mov_b32_e32 v8, s1
	v_add_co_u32_e32 v0, vcc, s0, v0
	v_addc_co_u32_e32 v1, vcc, v8, v1, vcc
	global_store_dword v[0:1], v2, off
	v_or_b32_e32 v0, 0x100, v4
	v_mov_b32_e32 v1, v5
	v_lshlrev_b64 v[0:1], 2, v[0:1]
	v_add_co_u32_e32 v0, vcc, s0, v0
	v_addc_co_u32_e32 v1, vcc, v8, v1, vcc
	global_store_dword v[0:1], v3, off
	v_or_b32_e32 v0, 0x200, v4
	v_mov_b32_e32 v1, v5
	v_lshlrev_b64 v[0:1], 2, v[0:1]
	v_add_co_u32_e32 v0, vcc, s0, v0
	v_addc_co_u32_e32 v1, vcc, v8, v1, vcc
	v_or_b32_e32 v4, 0x300, v4
	global_store_dword v[0:1], v6, off
	v_lshlrev_b64 v[0:1], 2, v[4:5]
	v_add_co_u32_e32 v0, vcc, s0, v0
	v_addc_co_u32_e32 v1, vcc, v8, v1, vcc
	global_store_dword v[0:1], v7, off
	s_endpgm
	.section	.rodata,"a",@progbits
	.p2align	6, 0x0
	.amdhsa_kernel _Z39warp_exchange_scatter_to_striped_kernelIiLj256ELj4ELj32EiEvPT3_
		.amdhsa_group_segment_fixed_size 4096
		.amdhsa_private_segment_fixed_size 0
		.amdhsa_kernarg_size 8
		.amdhsa_user_sgpr_count 6
		.amdhsa_user_sgpr_private_segment_buffer 1
		.amdhsa_user_sgpr_dispatch_ptr 0
		.amdhsa_user_sgpr_queue_ptr 0
		.amdhsa_user_sgpr_kernarg_segment_ptr 1
		.amdhsa_user_sgpr_dispatch_id 0
		.amdhsa_user_sgpr_flat_scratch_init 0
		.amdhsa_user_sgpr_kernarg_preload_length 0
		.amdhsa_user_sgpr_kernarg_preload_offset 0
		.amdhsa_user_sgpr_private_segment_size 0
		.amdhsa_uses_dynamic_stack 0
		.amdhsa_system_sgpr_private_segment_wavefront_offset 0
		.amdhsa_system_sgpr_workgroup_id_x 1
		.amdhsa_system_sgpr_workgroup_id_y 0
		.amdhsa_system_sgpr_workgroup_id_z 0
		.amdhsa_system_sgpr_workgroup_info 0
		.amdhsa_system_vgpr_workitem_id 0
		.amdhsa_next_free_vgpr 9
		.amdhsa_next_free_sgpr 7
		.amdhsa_accum_offset 12
		.amdhsa_reserve_vcc 1
		.amdhsa_reserve_flat_scratch 0
		.amdhsa_float_round_mode_32 0
		.amdhsa_float_round_mode_16_64 0
		.amdhsa_float_denorm_mode_32 3
		.amdhsa_float_denorm_mode_16_64 3
		.amdhsa_dx10_clamp 1
		.amdhsa_ieee_mode 1
		.amdhsa_fp16_overflow 0
		.amdhsa_tg_split 0
		.amdhsa_exception_fp_ieee_invalid_op 0
		.amdhsa_exception_fp_denorm_src 0
		.amdhsa_exception_fp_ieee_div_zero 0
		.amdhsa_exception_fp_ieee_overflow 0
		.amdhsa_exception_fp_ieee_underflow 0
		.amdhsa_exception_fp_ieee_inexact 0
		.amdhsa_exception_int_div_zero 0
	.end_amdhsa_kernel
	.section	.text._Z39warp_exchange_scatter_to_striped_kernelIiLj256ELj4ELj32EiEvPT3_,"axG",@progbits,_Z39warp_exchange_scatter_to_striped_kernelIiLj256ELj4ELj32EiEvPT3_,comdat
.Lfunc_end10:
	.size	_Z39warp_exchange_scatter_to_striped_kernelIiLj256ELj4ELj32EiEvPT3_, .Lfunc_end10-_Z39warp_exchange_scatter_to_striped_kernelIiLj256ELj4ELj32EiEvPT3_
                                        ; -- End function
	.section	.AMDGPU.csdata,"",@progbits
; Kernel info:
; codeLenInByte = 240
; NumSgprs: 11
; NumVgprs: 9
; NumAgprs: 0
; TotalNumVgprs: 9
; ScratchSize: 0
; MemoryBound: 0
; FloatMode: 240
; IeeeMode: 1
; LDSByteSize: 4096 bytes/workgroup (compile time only)
; SGPRBlocks: 1
; VGPRBlocks: 1
; NumSGPRsForWavesPerEU: 11
; NumVGPRsForWavesPerEU: 9
; AccumOffset: 12
; Occupancy: 8
; WaveLimiterHint : 0
; COMPUTE_PGM_RSRC2:SCRATCH_EN: 0
; COMPUTE_PGM_RSRC2:USER_SGPR: 6
; COMPUTE_PGM_RSRC2:TRAP_HANDLER: 0
; COMPUTE_PGM_RSRC2:TGID_X_EN: 1
; COMPUTE_PGM_RSRC2:TGID_Y_EN: 0
; COMPUTE_PGM_RSRC2:TGID_Z_EN: 0
; COMPUTE_PGM_RSRC2:TIDIG_COMP_CNT: 0
; COMPUTE_PGM_RSRC3_GFX90A:ACCUM_OFFSET: 2
; COMPUTE_PGM_RSRC3_GFX90A:TG_SPLIT: 0
	.section	.text._Z20warp_exchange_kernelILj128ELj16ELj16ELN6hipcub21WarpExchangeAlgorithmE1E18StripedToBlockedOpiEvPT4_,"axG",@progbits,_Z20warp_exchange_kernelILj128ELj16ELj16ELN6hipcub21WarpExchangeAlgorithmE1E18StripedToBlockedOpiEvPT4_,comdat
	.protected	_Z20warp_exchange_kernelILj128ELj16ELj16ELN6hipcub21WarpExchangeAlgorithmE1E18StripedToBlockedOpiEvPT4_ ; -- Begin function _Z20warp_exchange_kernelILj128ELj16ELj16ELN6hipcub21WarpExchangeAlgorithmE1E18StripedToBlockedOpiEvPT4_
	.globl	_Z20warp_exchange_kernelILj128ELj16ELj16ELN6hipcub21WarpExchangeAlgorithmE1E18StripedToBlockedOpiEvPT4_
	.p2align	8
	.type	_Z20warp_exchange_kernelILj128ELj16ELj16ELN6hipcub21WarpExchangeAlgorithmE1E18StripedToBlockedOpiEvPT4_,@function
_Z20warp_exchange_kernelILj128ELj16ELj16ELN6hipcub21WarpExchangeAlgorithmE1E18StripedToBlockedOpiEvPT4_: ; @_Z20warp_exchange_kernelILj128ELj16ELj16ELN6hipcub21WarpExchangeAlgorithmE1E18StripedToBlockedOpiEvPT4_
; %bb.0:
	s_add_u32 s0, s0, s9
	s_addc_u32 s1, s1, 0
	v_mov_b32_e32 v3, 1
	buffer_store_dword v3, off, s[0:3], 0 offset:4
	v_mov_b32_e32 v3, 3
	buffer_store_dword v3, off, s[0:3], 0 offset:12
	v_mov_b32_e32 v3, 2
	buffer_store_dword v3, off, s[0:3], 0 offset:8
	v_mov_b32_e32 v3, 4
	buffer_store_dword v3, off, s[0:3], 0 offset:16
	v_mov_b32_e32 v3, 5
	buffer_store_dword v3, off, s[0:3], 0 offset:20
	v_mov_b32_e32 v3, 7
	buffer_store_dword v3, off, s[0:3], 0 offset:28
	v_mov_b32_e32 v3, 6
	v_mbcnt_lo_u32_b32 v2, -1, 0
	buffer_store_dword v3, off, s[0:3], 0 offset:24
	v_mov_b32_e32 v3, 8
	buffer_store_dword v3, off, s[0:3], 0 offset:32
	v_mov_b32_e32 v3, 9
	v_mbcnt_hi_u32_b32 v2, -1, v2
	buffer_store_dword v3, off, s[0:3], 0 offset:36
	v_and_b32_e32 v3, 8, v2
	v_mov_b32_e32 v1, 0
	v_lshlrev_b32_e32 v4, 2, v3
	v_mov_b32_e32 v5, 0
	buffer_store_dword v1, off, s[0:3], 0
	v_xad_u32 v4, v4, 32, v5
	buffer_load_dword v6, v4, s[0:3], 0 offen
	v_cmp_eq_u32_e64 s[6:7], 0, v3
	v_cndmask_b32_e64 v3, 4, 36, s[6:7]
	v_add_u32_e32 v3, 0, v3
	v_mov_b32_e32 v7, 11
	v_mov_b32_e32 v8, 14
	;; [unrolled: 1-line block ×3, first 2 shown]
	s_load_dwordx2 s[4:5], s[4:5], 0x0
	v_lshlrev_b32_e32 v0, 4, v0
	v_lshl_or_b32 v0, s8, 11, v0
	v_lshlrev_b64 v[0:1], 2, v[0:1]
	s_waitcnt lgkmcnt(0)
	v_mov_b32_e32 v18, s5
	s_waitcnt vmcnt(0)
	ds_swizzle_b32 v6, v6 offset:swizzle(SWAP,8)
	s_waitcnt lgkmcnt(0)
	buffer_store_dword v6, v4, s[0:3], 0 offen
	buffer_load_dword v4, v3, s[0:3], 0 offen
	v_mov_b32_e32 v6, 10
	buffer_store_dword v6, off, s[0:3], 0 offset:40
	buffer_store_dword v7, off, s[0:3], 0 offset:44
	v_cndmask_b32_e64 v6, 8, 40, s[6:7]
	v_add_u32_e32 v6, 0, v6
	v_mov_b32_e32 v7, 13
	s_waitcnt vmcnt(2)
	ds_swizzle_b32 v4, v4 offset:swizzle(SWAP,8)
	s_waitcnt lgkmcnt(0)
	buffer_store_dword v4, v3, s[0:3], 0 offen
	buffer_load_dword v3, v6, s[0:3], 0 offen
	v_cndmask_b32_e64 v4, 12, 44, s[6:7]
	v_add_u32_e32 v4, 0, v4
	s_waitcnt vmcnt(0)
	ds_swizzle_b32 v3, v3 offset:swizzle(SWAP,8)
	s_waitcnt lgkmcnt(0)
	buffer_store_dword v3, v6, s[0:3], 0 offen
	buffer_load_dword v3, v4, s[0:3], 0 offen
	v_mov_b32_e32 v6, 12
	buffer_store_dword v6, off, s[0:3], 0 offset:48
	buffer_store_dword v7, off, s[0:3], 0 offset:52
	v_cndmask_b32_e64 v6, 16, 48, s[6:7]
	v_add_u32_e32 v6, 0, v6
	s_waitcnt vmcnt(2)
	ds_swizzle_b32 v3, v3 offset:swizzle(SWAP,8)
	s_waitcnt lgkmcnt(0)
	buffer_store_dword v3, v4, s[0:3], 0 offen
	buffer_load_dword v3, v6, s[0:3], 0 offen
	v_cndmask_b32_e64 v4, 20, 52, s[6:7]
	v_add_u32_e32 v4, 0, v4
	s_waitcnt vmcnt(0)
	ds_swizzle_b32 v3, v3 offset:swizzle(SWAP,8)
	s_waitcnt lgkmcnt(0)
	buffer_store_dword v3, v6, s[0:3], 0 offen
	buffer_load_dword v3, v4, s[0:3], 0 offen
	v_and_b32_e32 v6, 4, v2
	v_lshlrev_b32_e32 v7, 2, v6
	v_xad_u32 v5, v7, 16, v5
	buffer_load_dword v7, v5, s[0:3], 0 offen
	s_nop 0
	buffer_store_dword v8, off, s[0:3], 0 offset:56
	buffer_store_dword v9, off, s[0:3], 0 offset:60
	v_cndmask_b32_e64 v8, 24, 56, s[6:7]
	v_add_u32_e32 v8, 0, v8
	v_cmp_eq_u32_e32 vcc, 0, v6
	v_cndmask_b32_e64 v6, 4, 20, vcc
	v_add_u32_e32 v6, 0, v6
	v_cndmask_b32_e64 v10, 36, 52, vcc
	v_add_u32_e32 v10, 0, v10
	s_waitcnt vmcnt(3)
	ds_swizzle_b32 v3, v3 offset:swizzle(SWAP,8)
	s_waitcnt lgkmcnt(0)
	buffer_store_dword v3, v4, s[0:3], 0 offen
	buffer_load_dword v3, v8, s[0:3], 0 offen
	s_waitcnt vmcnt(4)
	ds_swizzle_b32 v4, v7 offset:swizzle(SWAP,4)
	v_cndmask_b32_e64 v7, 8, 24, vcc
	v_add_u32_e32 v7, 0, v7
	s_waitcnt lgkmcnt(0)
	buffer_store_dword v4, v5, s[0:3], 0 offen
	buffer_load_dword v4, v6, s[0:3], 0 offen
	v_cndmask_b32_e64 v5, 28, 60, s[6:7]
	v_add_u32_e32 v5, 0, v5
	s_waitcnt vmcnt(2)
	ds_swizzle_b32 v3, v3 offset:swizzle(SWAP,8)
	s_waitcnt lgkmcnt(0)
	buffer_store_dword v3, v8, s[0:3], 0 offen
	buffer_load_dword v3, v5, s[0:3], 0 offen
	s_waitcnt vmcnt(2)
	ds_swizzle_b32 v4, v4 offset:swizzle(SWAP,4)
	s_waitcnt lgkmcnt(0)
	buffer_store_dword v4, v6, s[0:3], 0 offen
	buffer_load_dword v4, v7, s[0:3], 0 offen
	v_cndmask_b32_e64 v6, 32, 48, vcc
	v_add_u32_e32 v6, 0, v6
	s_waitcnt vmcnt(2)
	ds_swizzle_b32 v3, v3 offset:swizzle(SWAP,8)
	s_waitcnt lgkmcnt(0)
	buffer_store_dword v3, v5, s[0:3], 0 offen
	buffer_load_dword v3, v6, s[0:3], 0 offen
	s_waitcnt vmcnt(2)
	ds_swizzle_b32 v4, v4 offset:swizzle(SWAP,4)
	v_cndmask_b32_e64 v5, 12, 28, vcc
	v_add_u32_e32 v5, 0, v5
	s_waitcnt lgkmcnt(0)
	buffer_store_dword v4, v7, s[0:3], 0 offen
	buffer_load_dword v4, v5, s[0:3], 0 offen
	v_and_b32_e32 v7, 2, v2
	v_lshlrev_b32_e32 v8, 2, v7
	v_xor_b32_e32 v8, 8, v8
	v_or_b32_e32 v8, 0, v8
	buffer_load_dword v9, v8, s[0:3], 0 offen
	v_cmp_eq_u32_e64 s[6:7], 0, v7
	v_cndmask_b32_e64 v7, 4, 12, s[6:7]
	v_or_b32_e32 v7, 0, v7
	v_and_b32_e32 v2, 1, v2
	v_cndmask_b32_e64 v12, 48, 56, s[6:7]
	v_add_u32_e32 v12, 0, v12
	s_waitcnt vmcnt(3)
	ds_swizzle_b32 v3, v3 offset:swizzle(SWAP,4)
	s_waitcnt lgkmcnt(0)
	buffer_store_dword v3, v6, s[0:3], 0 offen
	buffer_load_dword v3, v10, s[0:3], 0 offen
	s_waitcnt vmcnt(3)
	ds_swizzle_b32 v4, v4 offset:swizzle(SWAP,4)
	s_waitcnt vmcnt(2)
	ds_swizzle_b32 v6, v9 offset:swizzle(SWAP,2)
	s_waitcnt lgkmcnt(1)
	buffer_store_dword v4, v5, s[0:3], 0 offen
	s_waitcnt lgkmcnt(0)
	buffer_store_dword v6, v8, s[0:3], 0 offen
	v_cndmask_b32_e64 v5, 40, 56, vcc
	buffer_load_dword v4, v7, s[0:3], 0 offen
	v_add_u32_e32 v5, 0, v5
	v_cndmask_b32_e64 v6, 16, 24, s[6:7]
	v_add_u32_e32 v6, 0, v6
	buffer_load_dword v8, v6, s[0:3], 0 offen
	v_lshlrev_b32_e32 v9, 2, v2
	v_xor_b32_e32 v9, 4, v9
	v_or_b32_e32 v9, 0, v9
	s_waitcnt vmcnt(4)
	ds_swizzle_b32 v3, v3 offset:swizzle(SWAP,4)
	s_waitcnt lgkmcnt(0)
	buffer_store_dword v3, v10, s[0:3], 0 offen
	buffer_load_dword v3, v5, s[0:3], 0 offen
	v_cndmask_b32_e64 v10, 32, 40, s[6:7]
	v_add_u32_e32 v10, 0, v10
	s_waitcnt vmcnt(3)
	ds_swizzle_b32 v4, v4 offset:swizzle(SWAP,2)
	s_waitcnt lgkmcnt(0)
	buffer_store_dword v4, v7, s[0:3], 0 offen
	v_cndmask_b32_e64 v7, 44, 60, vcc
	v_add_u32_e32 v7, 0, v7
	buffer_load_dword v4, v9, s[0:3], 0 offen
	v_cmp_eq_u32_e32 vcc, 0, v2
	v_cndmask_b32_e64 v2, 8, 12, vcc
	v_or_b32_e32 v2, 0, v2
	v_cndmask_b32_e64 v13, 32, 36, vcc
	v_cndmask_b32_e64 v14, 40, 44, vcc
	v_add_u32_e32 v13, 0, v13
	v_add_u32_e32 v14, 0, v14
	v_cndmask_b32_e64 v16, 48, 52, vcc
	v_cndmask_b32_e64 v17, 56, 60, vcc
	v_add_u32_e32 v16, 0, v16
	v_add_u32_e32 v17, 0, v17
	s_waitcnt vmcnt(2)
	ds_swizzle_b32 v3, v3 offset:swizzle(SWAP,4)
	s_waitcnt lgkmcnt(0)
	buffer_store_dword v3, v5, s[0:3], 0 offen
	buffer_load_dword v3, v7, s[0:3], 0 offen
	ds_swizzle_b32 v5, v8 offset:swizzle(SWAP,2)
	v_cndmask_b32_e64 v8, 20, 28, s[6:7]
	v_add_u32_e32 v8, 0, v8
	s_waitcnt lgkmcnt(0)
	buffer_store_dword v5, v6, s[0:3], 0 offen
	buffer_load_dword v5, v8, s[0:3], 0 offen
	s_nop 0
	buffer_load_dword v6, v10, s[0:3], 0 offen
	buffer_load_dword v11, v2, s[0:3], 0 offen
	s_waitcnt vmcnt(6)
	ds_swizzle_b32 v4, v4 offset:swizzle(SWAP,1)
	s_waitcnt vmcnt(4)
	ds_swizzle_b32 v3, v3 offset:swizzle(SWAP,4)
	s_waitcnt lgkmcnt(0)
	buffer_store_dword v3, v7, s[0:3], 0 offen
	buffer_load_dword v3, v12, s[0:3], 0 offen
	s_waitcnt vmcnt(3)
	ds_swizzle_b32 v6, v6 offset:swizzle(SWAP,2)
	ds_swizzle_b32 v5, v5 offset:swizzle(SWAP,2)
	v_cndmask_b32_e64 v7, 36, 44, s[6:7]
	v_add_u32_e32 v7, 0, v7
	s_waitcnt lgkmcnt(1)
	buffer_store_dword v6, v10, s[0:3], 0 offen
	v_cndmask_b32_e64 v10, 16, 20, vcc
	v_add_u32_e32 v10, 0, v10
	s_waitcnt lgkmcnt(0)
	buffer_store_dword v5, v8, s[0:3], 0 offen
	buffer_load_dword v5, v10, s[0:3], 0 offen
	v_cndmask_b32_e64 v8, 52, 60, s[6:7]
	buffer_load_dword v6, v7, s[0:3], 0 offen
	v_add_u32_e32 v8, 0, v8
	s_waitcnt vmcnt(4)
	ds_swizzle_b32 v3, v3 offset:swizzle(SWAP,2)
	s_waitcnt lgkmcnt(0)
	buffer_store_dword v3, v12, s[0:3], 0 offen
	buffer_load_dword v3, v8, s[0:3], 0 offen
	v_cndmask_b32_e64 v12, 24, 28, vcc
	v_add_u32_e32 v12, 0, v12
	v_add_co_u32_e32 v0, vcc, s4, v0
	s_waitcnt vmcnt(3)
	ds_swizzle_b32 v5, v5 offset:swizzle(SWAP,1)
	s_waitcnt vmcnt(2)
	ds_swizzle_b32 v6, v6 offset:swizzle(SWAP,2)
	v_addc_co_u32_e32 v1, vcc, v18, v1, vcc
	s_waitcnt lgkmcnt(0)
	buffer_store_dword v6, v7, s[0:3], 0 offen
	buffer_load_dword v6, v12, s[0:3], 0 offen
	s_nop 0
	buffer_load_dword v7, v13, s[0:3], 0 offen
	buffer_load_dword v15, v14, s[0:3], 0 offen
	s_waitcnt vmcnt(4)
	ds_swizzle_b32 v3, v3 offset:swizzle(SWAP,2)
	s_waitcnt lgkmcnt(0)
	buffer_store_dword v3, v8, s[0:3], 0 offen
	buffer_load_dword v3, v16, s[0:3], 0 offen
	s_nop 0
	buffer_load_dword v8, v17, s[0:3], 0 offen
	s_waitcnt vmcnt(5)
	ds_swizzle_b32 v6, v6 offset:swizzle(SWAP,1)
	buffer_store_dword v4, v9, s[0:3], 0 offen
	ds_swizzle_b32 v4, v11 offset:swizzle(SWAP,1)
	s_waitcnt vmcnt(5)
	ds_swizzle_b32 v7, v7 offset:swizzle(SWAP,1)
	s_waitcnt vmcnt(4)
	ds_swizzle_b32 v9, v15 offset:swizzle(SWAP,1)
	s_waitcnt lgkmcnt(2)
	buffer_store_dword v4, v2, s[0:3], 0 offen
	buffer_store_dword v5, v10, s[0:3], 0 offen
	;; [unrolled: 1-line block ×3, first 2 shown]
	s_waitcnt lgkmcnt(1)
	buffer_store_dword v7, v13, s[0:3], 0 offen
	s_waitcnt lgkmcnt(0)
	buffer_store_dword v9, v14, s[0:3], 0 offen
	s_waitcnt vmcnt(7)
	ds_swizzle_b32 v10, v3 offset:swizzle(SWAP,1)
	s_waitcnt vmcnt(6)
	ds_swizzle_b32 v11, v8 offset:swizzle(SWAP,1)
	buffer_load_dword v2, off, s[0:3], 0
	buffer_load_dword v3, off, s[0:3], 0 offset:4
	buffer_load_dword v4, off, s[0:3], 0 offset:8
	;; [unrolled: 1-line block ×7, first 2 shown]
	s_waitcnt lgkmcnt(1)
	buffer_store_dword v10, v16, s[0:3], 0 offen
	s_waitcnt lgkmcnt(0)
	buffer_store_dword v11, v17, s[0:3], 0 offen
	buffer_load_dword v10, off, s[0:3], 0 offset:32
	s_nop 0
	buffer_load_dword v11, off, s[0:3], 0 offset:36
	buffer_load_dword v12, off, s[0:3], 0 offset:40
	;; [unrolled: 1-line block ×7, first 2 shown]
	s_waitcnt vmcnt(14)
	global_store_dwordx4 v[0:1], v[2:5], off
	s_waitcnt vmcnt(11)
	global_store_dwordx4 v[0:1], v[6:9], off offset:16
	s_waitcnt vmcnt(6)
	global_store_dwordx4 v[0:1], v[10:13], off offset:32
	s_waitcnt vmcnt(3)
	global_store_dwordx4 v[0:1], v[14:17], off offset:48
	s_endpgm
	.section	.rodata,"a",@progbits
	.p2align	6, 0x0
	.amdhsa_kernel _Z20warp_exchange_kernelILj128ELj16ELj16ELN6hipcub21WarpExchangeAlgorithmE1E18StripedToBlockedOpiEvPT4_
		.amdhsa_group_segment_fixed_size 0
		.amdhsa_private_segment_fixed_size 80
		.amdhsa_kernarg_size 8
		.amdhsa_user_sgpr_count 8
		.amdhsa_user_sgpr_private_segment_buffer 1
		.amdhsa_user_sgpr_dispatch_ptr 0
		.amdhsa_user_sgpr_queue_ptr 0
		.amdhsa_user_sgpr_kernarg_segment_ptr 1
		.amdhsa_user_sgpr_dispatch_id 0
		.amdhsa_user_sgpr_flat_scratch_init 1
		.amdhsa_user_sgpr_kernarg_preload_length 0
		.amdhsa_user_sgpr_kernarg_preload_offset 0
		.amdhsa_user_sgpr_private_segment_size 0
		.amdhsa_uses_dynamic_stack 0
		.amdhsa_system_sgpr_private_segment_wavefront_offset 1
		.amdhsa_system_sgpr_workgroup_id_x 1
		.amdhsa_system_sgpr_workgroup_id_y 0
		.amdhsa_system_sgpr_workgroup_id_z 0
		.amdhsa_system_sgpr_workgroup_info 0
		.amdhsa_system_vgpr_workitem_id 0
		.amdhsa_next_free_vgpr 19
		.amdhsa_next_free_sgpr 10
		.amdhsa_accum_offset 20
		.amdhsa_reserve_vcc 1
		.amdhsa_reserve_flat_scratch 0
		.amdhsa_float_round_mode_32 0
		.amdhsa_float_round_mode_16_64 0
		.amdhsa_float_denorm_mode_32 3
		.amdhsa_float_denorm_mode_16_64 3
		.amdhsa_dx10_clamp 1
		.amdhsa_ieee_mode 1
		.amdhsa_fp16_overflow 0
		.amdhsa_tg_split 0
		.amdhsa_exception_fp_ieee_invalid_op 0
		.amdhsa_exception_fp_denorm_src 0
		.amdhsa_exception_fp_ieee_div_zero 0
		.amdhsa_exception_fp_ieee_overflow 0
		.amdhsa_exception_fp_ieee_underflow 0
		.amdhsa_exception_fp_ieee_inexact 0
		.amdhsa_exception_int_div_zero 0
	.end_amdhsa_kernel
	.section	.text._Z20warp_exchange_kernelILj128ELj16ELj16ELN6hipcub21WarpExchangeAlgorithmE1E18StripedToBlockedOpiEvPT4_,"axG",@progbits,_Z20warp_exchange_kernelILj128ELj16ELj16ELN6hipcub21WarpExchangeAlgorithmE1E18StripedToBlockedOpiEvPT4_,comdat
.Lfunc_end11:
	.size	_Z20warp_exchange_kernelILj128ELj16ELj16ELN6hipcub21WarpExchangeAlgorithmE1E18StripedToBlockedOpiEvPT4_, .Lfunc_end11-_Z20warp_exchange_kernelILj128ELj16ELj16ELN6hipcub21WarpExchangeAlgorithmE1E18StripedToBlockedOpiEvPT4_
                                        ; -- End function
	.section	.AMDGPU.csdata,"",@progbits
; Kernel info:
; codeLenInByte = 1888
; NumSgprs: 14
; NumVgprs: 19
; NumAgprs: 0
; TotalNumVgprs: 19
; ScratchSize: 80
; MemoryBound: 0
; FloatMode: 240
; IeeeMode: 1
; LDSByteSize: 0 bytes/workgroup (compile time only)
; SGPRBlocks: 1
; VGPRBlocks: 2
; NumSGPRsForWavesPerEU: 14
; NumVGPRsForWavesPerEU: 19
; AccumOffset: 20
; Occupancy: 8
; WaveLimiterHint : 0
; COMPUTE_PGM_RSRC2:SCRATCH_EN: 1
; COMPUTE_PGM_RSRC2:USER_SGPR: 8
; COMPUTE_PGM_RSRC2:TRAP_HANDLER: 0
; COMPUTE_PGM_RSRC2:TGID_X_EN: 1
; COMPUTE_PGM_RSRC2:TGID_Y_EN: 0
; COMPUTE_PGM_RSRC2:TGID_Z_EN: 0
; COMPUTE_PGM_RSRC2:TIDIG_COMP_CNT: 0
; COMPUTE_PGM_RSRC3_GFX90A:ACCUM_OFFSET: 4
; COMPUTE_PGM_RSRC3_GFX90A:TG_SPLIT: 0
	.section	.text._Z20warp_exchange_kernelILj128ELj16ELj16ELN6hipcub21WarpExchangeAlgorithmE1E18BlockedToStripedOpiEvPT4_,"axG",@progbits,_Z20warp_exchange_kernelILj128ELj16ELj16ELN6hipcub21WarpExchangeAlgorithmE1E18BlockedToStripedOpiEvPT4_,comdat
	.protected	_Z20warp_exchange_kernelILj128ELj16ELj16ELN6hipcub21WarpExchangeAlgorithmE1E18BlockedToStripedOpiEvPT4_ ; -- Begin function _Z20warp_exchange_kernelILj128ELj16ELj16ELN6hipcub21WarpExchangeAlgorithmE1E18BlockedToStripedOpiEvPT4_
	.globl	_Z20warp_exchange_kernelILj128ELj16ELj16ELN6hipcub21WarpExchangeAlgorithmE1E18BlockedToStripedOpiEvPT4_
	.p2align	8
	.type	_Z20warp_exchange_kernelILj128ELj16ELj16ELN6hipcub21WarpExchangeAlgorithmE1E18BlockedToStripedOpiEvPT4_,@function
_Z20warp_exchange_kernelILj128ELj16ELj16ELN6hipcub21WarpExchangeAlgorithmE1E18BlockedToStripedOpiEvPT4_: ; @_Z20warp_exchange_kernelILj128ELj16ELj16ELN6hipcub21WarpExchangeAlgorithmE1E18BlockedToStripedOpiEvPT4_
; %bb.0:
	s_add_u32 s0, s0, s9
	s_addc_u32 s1, s1, 0
	v_mov_b32_e32 v3, 1
	buffer_store_dword v3, off, s[0:3], 0 offset:4
	v_mov_b32_e32 v3, 3
	buffer_store_dword v3, off, s[0:3], 0 offset:12
	;; [unrolled: 2-line block ×6, first 2 shown]
	v_mov_b32_e32 v3, 6
	v_mbcnt_lo_u32_b32 v2, -1, 0
	buffer_store_dword v3, off, s[0:3], 0 offset:24
	v_mov_b32_e32 v3, 8
	buffer_store_dword v3, off, s[0:3], 0 offset:32
	v_mov_b32_e32 v3, 9
	v_mbcnt_hi_u32_b32 v2, -1, v2
	buffer_store_dword v3, off, s[0:3], 0 offset:36
	v_and_b32_e32 v3, 8, v2
	v_mov_b32_e32 v1, 0
	v_lshlrev_b32_e32 v4, 2, v3
	v_mov_b32_e32 v5, 0
	buffer_store_dword v1, off, s[0:3], 0
	v_xad_u32 v4, v4, 32, v5
	buffer_load_dword v6, v4, s[0:3], 0 offen
	v_cmp_eq_u32_e64 s[6:7], 0, v3
	v_cndmask_b32_e64 v3, 4, 36, s[6:7]
	v_add_u32_e32 v3, 0, v3
	v_mov_b32_e32 v7, 11
	v_mov_b32_e32 v8, 14
	;; [unrolled: 1-line block ×3, first 2 shown]
	s_load_dwordx2 s[4:5], s[4:5], 0x0
	v_lshlrev_b32_e32 v0, 4, v0
	v_lshl_or_b32 v0, s8, 11, v0
	v_lshlrev_b64 v[0:1], 2, v[0:1]
	s_waitcnt lgkmcnt(0)
	v_mov_b32_e32 v18, s5
	s_waitcnt vmcnt(0)
	ds_swizzle_b32 v6, v6 offset:swizzle(SWAP,8)
	s_waitcnt lgkmcnt(0)
	buffer_store_dword v6, v4, s[0:3], 0 offen
	buffer_load_dword v4, v3, s[0:3], 0 offen
	v_mov_b32_e32 v6, 10
	buffer_store_dword v6, off, s[0:3], 0 offset:40
	buffer_store_dword v7, off, s[0:3], 0 offset:44
	v_cndmask_b32_e64 v6, 8, 40, s[6:7]
	v_add_u32_e32 v6, 0, v6
	v_mov_b32_e32 v7, 13
	s_waitcnt vmcnt(2)
	ds_swizzle_b32 v4, v4 offset:swizzle(SWAP,8)
	s_waitcnt lgkmcnt(0)
	buffer_store_dword v4, v3, s[0:3], 0 offen
	buffer_load_dword v3, v6, s[0:3], 0 offen
	v_cndmask_b32_e64 v4, 12, 44, s[6:7]
	v_add_u32_e32 v4, 0, v4
	s_waitcnt vmcnt(0)
	ds_swizzle_b32 v3, v3 offset:swizzle(SWAP,8)
	s_waitcnt lgkmcnt(0)
	buffer_store_dword v3, v6, s[0:3], 0 offen
	buffer_load_dword v3, v4, s[0:3], 0 offen
	v_mov_b32_e32 v6, 12
	buffer_store_dword v6, off, s[0:3], 0 offset:48
	buffer_store_dword v7, off, s[0:3], 0 offset:52
	v_cndmask_b32_e64 v6, 16, 48, s[6:7]
	v_add_u32_e32 v6, 0, v6
	s_waitcnt vmcnt(2)
	ds_swizzle_b32 v3, v3 offset:swizzle(SWAP,8)
	s_waitcnt lgkmcnt(0)
	buffer_store_dword v3, v4, s[0:3], 0 offen
	buffer_load_dword v3, v6, s[0:3], 0 offen
	v_cndmask_b32_e64 v4, 20, 52, s[6:7]
	v_add_u32_e32 v4, 0, v4
	s_waitcnt vmcnt(0)
	ds_swizzle_b32 v3, v3 offset:swizzle(SWAP,8)
	s_waitcnt lgkmcnt(0)
	buffer_store_dword v3, v6, s[0:3], 0 offen
	buffer_load_dword v3, v4, s[0:3], 0 offen
	v_and_b32_e32 v6, 4, v2
	v_lshlrev_b32_e32 v7, 2, v6
	v_xad_u32 v5, v7, 16, v5
	buffer_load_dword v7, v5, s[0:3], 0 offen
	s_nop 0
	buffer_store_dword v8, off, s[0:3], 0 offset:56
	buffer_store_dword v9, off, s[0:3], 0 offset:60
	v_cndmask_b32_e64 v8, 24, 56, s[6:7]
	v_add_u32_e32 v8, 0, v8
	v_cmp_eq_u32_e32 vcc, 0, v6
	v_cndmask_b32_e64 v6, 4, 20, vcc
	v_add_u32_e32 v6, 0, v6
	v_cndmask_b32_e64 v10, 36, 52, vcc
	v_add_u32_e32 v10, 0, v10
	s_waitcnt vmcnt(3)
	ds_swizzle_b32 v3, v3 offset:swizzle(SWAP,8)
	s_waitcnt lgkmcnt(0)
	buffer_store_dword v3, v4, s[0:3], 0 offen
	buffer_load_dword v3, v8, s[0:3], 0 offen
	s_waitcnt vmcnt(4)
	ds_swizzle_b32 v4, v7 offset:swizzle(SWAP,4)
	v_cndmask_b32_e64 v7, 8, 24, vcc
	v_add_u32_e32 v7, 0, v7
	s_waitcnt lgkmcnt(0)
	buffer_store_dword v4, v5, s[0:3], 0 offen
	buffer_load_dword v4, v6, s[0:3], 0 offen
	v_cndmask_b32_e64 v5, 28, 60, s[6:7]
	v_add_u32_e32 v5, 0, v5
	s_waitcnt vmcnt(2)
	ds_swizzle_b32 v3, v3 offset:swizzle(SWAP,8)
	s_waitcnt lgkmcnt(0)
	buffer_store_dword v3, v8, s[0:3], 0 offen
	buffer_load_dword v3, v5, s[0:3], 0 offen
	s_waitcnt vmcnt(2)
	ds_swizzle_b32 v4, v4 offset:swizzle(SWAP,4)
	s_waitcnt lgkmcnt(0)
	buffer_store_dword v4, v6, s[0:3], 0 offen
	buffer_load_dword v4, v7, s[0:3], 0 offen
	v_cndmask_b32_e64 v6, 32, 48, vcc
	v_add_u32_e32 v6, 0, v6
	s_waitcnt vmcnt(2)
	ds_swizzle_b32 v3, v3 offset:swizzle(SWAP,8)
	s_waitcnt lgkmcnt(0)
	buffer_store_dword v3, v5, s[0:3], 0 offen
	buffer_load_dword v3, v6, s[0:3], 0 offen
	s_waitcnt vmcnt(2)
	ds_swizzle_b32 v4, v4 offset:swizzle(SWAP,4)
	v_cndmask_b32_e64 v5, 12, 28, vcc
	v_add_u32_e32 v5, 0, v5
	s_waitcnt lgkmcnt(0)
	buffer_store_dword v4, v7, s[0:3], 0 offen
	buffer_load_dword v4, v5, s[0:3], 0 offen
	v_and_b32_e32 v7, 2, v2
	v_lshlrev_b32_e32 v8, 2, v7
	v_xor_b32_e32 v8, 8, v8
	v_or_b32_e32 v8, 0, v8
	buffer_load_dword v9, v8, s[0:3], 0 offen
	v_cmp_eq_u32_e64 s[6:7], 0, v7
	v_cndmask_b32_e64 v7, 4, 12, s[6:7]
	v_or_b32_e32 v7, 0, v7
	v_and_b32_e32 v2, 1, v2
	v_cndmask_b32_e64 v12, 48, 56, s[6:7]
	v_add_u32_e32 v12, 0, v12
	s_waitcnt vmcnt(3)
	ds_swizzle_b32 v3, v3 offset:swizzle(SWAP,4)
	s_waitcnt lgkmcnt(0)
	buffer_store_dword v3, v6, s[0:3], 0 offen
	buffer_load_dword v3, v10, s[0:3], 0 offen
	s_waitcnt vmcnt(3)
	ds_swizzle_b32 v4, v4 offset:swizzle(SWAP,4)
	s_waitcnt vmcnt(2)
	ds_swizzle_b32 v6, v9 offset:swizzle(SWAP,2)
	s_waitcnt lgkmcnt(1)
	buffer_store_dword v4, v5, s[0:3], 0 offen
	s_waitcnt lgkmcnt(0)
	buffer_store_dword v6, v8, s[0:3], 0 offen
	v_cndmask_b32_e64 v5, 40, 56, vcc
	buffer_load_dword v4, v7, s[0:3], 0 offen
	v_add_u32_e32 v5, 0, v5
	v_cndmask_b32_e64 v6, 16, 24, s[6:7]
	v_add_u32_e32 v6, 0, v6
	buffer_load_dword v8, v6, s[0:3], 0 offen
	v_lshlrev_b32_e32 v9, 2, v2
	v_xor_b32_e32 v9, 4, v9
	v_or_b32_e32 v9, 0, v9
	s_waitcnt vmcnt(4)
	ds_swizzle_b32 v3, v3 offset:swizzle(SWAP,4)
	s_waitcnt lgkmcnt(0)
	buffer_store_dword v3, v10, s[0:3], 0 offen
	buffer_load_dword v3, v5, s[0:3], 0 offen
	v_cndmask_b32_e64 v10, 32, 40, s[6:7]
	v_add_u32_e32 v10, 0, v10
	s_waitcnt vmcnt(3)
	ds_swizzle_b32 v4, v4 offset:swizzle(SWAP,2)
	s_waitcnt lgkmcnt(0)
	buffer_store_dword v4, v7, s[0:3], 0 offen
	v_cndmask_b32_e64 v7, 44, 60, vcc
	v_add_u32_e32 v7, 0, v7
	buffer_load_dword v4, v9, s[0:3], 0 offen
	v_cmp_eq_u32_e32 vcc, 0, v2
	v_cndmask_b32_e64 v2, 8, 12, vcc
	v_or_b32_e32 v2, 0, v2
	v_cndmask_b32_e64 v13, 32, 36, vcc
	v_cndmask_b32_e64 v14, 40, 44, vcc
	v_add_u32_e32 v13, 0, v13
	v_add_u32_e32 v14, 0, v14
	v_cndmask_b32_e64 v16, 48, 52, vcc
	v_cndmask_b32_e64 v17, 56, 60, vcc
	v_add_u32_e32 v16, 0, v16
	v_add_u32_e32 v17, 0, v17
	s_waitcnt vmcnt(2)
	ds_swizzle_b32 v3, v3 offset:swizzle(SWAP,4)
	s_waitcnt lgkmcnt(0)
	buffer_store_dword v3, v5, s[0:3], 0 offen
	buffer_load_dword v3, v7, s[0:3], 0 offen
	ds_swizzle_b32 v5, v8 offset:swizzle(SWAP,2)
	v_cndmask_b32_e64 v8, 20, 28, s[6:7]
	v_add_u32_e32 v8, 0, v8
	s_waitcnt lgkmcnt(0)
	buffer_store_dword v5, v6, s[0:3], 0 offen
	buffer_load_dword v5, v8, s[0:3], 0 offen
	s_nop 0
	buffer_load_dword v6, v10, s[0:3], 0 offen
	buffer_load_dword v11, v2, s[0:3], 0 offen
	s_waitcnt vmcnt(6)
	ds_swizzle_b32 v4, v4 offset:swizzle(SWAP,1)
	s_waitcnt vmcnt(4)
	ds_swizzle_b32 v3, v3 offset:swizzle(SWAP,4)
	s_waitcnt lgkmcnt(0)
	buffer_store_dword v3, v7, s[0:3], 0 offen
	buffer_load_dword v3, v12, s[0:3], 0 offen
	s_waitcnt vmcnt(3)
	ds_swizzle_b32 v6, v6 offset:swizzle(SWAP,2)
	ds_swizzle_b32 v5, v5 offset:swizzle(SWAP,2)
	v_cndmask_b32_e64 v7, 36, 44, s[6:7]
	v_add_u32_e32 v7, 0, v7
	s_waitcnt lgkmcnt(1)
	buffer_store_dword v6, v10, s[0:3], 0 offen
	v_cndmask_b32_e64 v10, 16, 20, vcc
	v_add_u32_e32 v10, 0, v10
	s_waitcnt lgkmcnt(0)
	buffer_store_dword v5, v8, s[0:3], 0 offen
	buffer_load_dword v5, v10, s[0:3], 0 offen
	v_cndmask_b32_e64 v8, 52, 60, s[6:7]
	buffer_load_dword v6, v7, s[0:3], 0 offen
	v_add_u32_e32 v8, 0, v8
	s_waitcnt vmcnt(4)
	ds_swizzle_b32 v3, v3 offset:swizzle(SWAP,2)
	s_waitcnt lgkmcnt(0)
	buffer_store_dword v3, v12, s[0:3], 0 offen
	buffer_load_dword v3, v8, s[0:3], 0 offen
	v_cndmask_b32_e64 v12, 24, 28, vcc
	v_add_u32_e32 v12, 0, v12
	v_add_co_u32_e32 v0, vcc, s4, v0
	s_waitcnt vmcnt(3)
	ds_swizzle_b32 v5, v5 offset:swizzle(SWAP,1)
	s_waitcnt vmcnt(2)
	ds_swizzle_b32 v6, v6 offset:swizzle(SWAP,2)
	v_addc_co_u32_e32 v1, vcc, v18, v1, vcc
	s_waitcnt lgkmcnt(0)
	buffer_store_dword v6, v7, s[0:3], 0 offen
	buffer_load_dword v6, v12, s[0:3], 0 offen
	s_nop 0
	buffer_load_dword v7, v13, s[0:3], 0 offen
	buffer_load_dword v15, v14, s[0:3], 0 offen
	s_waitcnt vmcnt(4)
	ds_swizzle_b32 v3, v3 offset:swizzle(SWAP,2)
	s_waitcnt lgkmcnt(0)
	buffer_store_dword v3, v8, s[0:3], 0 offen
	buffer_load_dword v3, v16, s[0:3], 0 offen
	s_nop 0
	buffer_load_dword v8, v17, s[0:3], 0 offen
	s_waitcnt vmcnt(5)
	ds_swizzle_b32 v6, v6 offset:swizzle(SWAP,1)
	buffer_store_dword v4, v9, s[0:3], 0 offen
	ds_swizzle_b32 v4, v11 offset:swizzle(SWAP,1)
	s_waitcnt vmcnt(5)
	ds_swizzle_b32 v7, v7 offset:swizzle(SWAP,1)
	s_waitcnt vmcnt(4)
	ds_swizzle_b32 v9, v15 offset:swizzle(SWAP,1)
	s_waitcnt lgkmcnt(2)
	buffer_store_dword v4, v2, s[0:3], 0 offen
	buffer_store_dword v5, v10, s[0:3], 0 offen
	;; [unrolled: 1-line block ×3, first 2 shown]
	s_waitcnt lgkmcnt(1)
	buffer_store_dword v7, v13, s[0:3], 0 offen
	s_waitcnt lgkmcnt(0)
	buffer_store_dword v9, v14, s[0:3], 0 offen
	s_waitcnt vmcnt(7)
	ds_swizzle_b32 v10, v3 offset:swizzle(SWAP,1)
	s_waitcnt vmcnt(6)
	ds_swizzle_b32 v11, v8 offset:swizzle(SWAP,1)
	buffer_load_dword v2, off, s[0:3], 0
	buffer_load_dword v3, off, s[0:3], 0 offset:4
	buffer_load_dword v4, off, s[0:3], 0 offset:8
	;; [unrolled: 1-line block ×7, first 2 shown]
	s_waitcnt lgkmcnt(1)
	buffer_store_dword v10, v16, s[0:3], 0 offen
	s_waitcnt lgkmcnt(0)
	buffer_store_dword v11, v17, s[0:3], 0 offen
	buffer_load_dword v10, off, s[0:3], 0 offset:32
	s_nop 0
	buffer_load_dword v11, off, s[0:3], 0 offset:36
	buffer_load_dword v12, off, s[0:3], 0 offset:40
	;; [unrolled: 1-line block ×7, first 2 shown]
	s_waitcnt vmcnt(14)
	global_store_dwordx4 v[0:1], v[2:5], off
	s_waitcnt vmcnt(11)
	global_store_dwordx4 v[0:1], v[6:9], off offset:16
	s_waitcnt vmcnt(6)
	global_store_dwordx4 v[0:1], v[10:13], off offset:32
	;; [unrolled: 2-line block ×3, first 2 shown]
	s_endpgm
	.section	.rodata,"a",@progbits
	.p2align	6, 0x0
	.amdhsa_kernel _Z20warp_exchange_kernelILj128ELj16ELj16ELN6hipcub21WarpExchangeAlgorithmE1E18BlockedToStripedOpiEvPT4_
		.amdhsa_group_segment_fixed_size 0
		.amdhsa_private_segment_fixed_size 80
		.amdhsa_kernarg_size 8
		.amdhsa_user_sgpr_count 8
		.amdhsa_user_sgpr_private_segment_buffer 1
		.amdhsa_user_sgpr_dispatch_ptr 0
		.amdhsa_user_sgpr_queue_ptr 0
		.amdhsa_user_sgpr_kernarg_segment_ptr 1
		.amdhsa_user_sgpr_dispatch_id 0
		.amdhsa_user_sgpr_flat_scratch_init 1
		.amdhsa_user_sgpr_kernarg_preload_length 0
		.amdhsa_user_sgpr_kernarg_preload_offset 0
		.amdhsa_user_sgpr_private_segment_size 0
		.amdhsa_uses_dynamic_stack 0
		.amdhsa_system_sgpr_private_segment_wavefront_offset 1
		.amdhsa_system_sgpr_workgroup_id_x 1
		.amdhsa_system_sgpr_workgroup_id_y 0
		.amdhsa_system_sgpr_workgroup_id_z 0
		.amdhsa_system_sgpr_workgroup_info 0
		.amdhsa_system_vgpr_workitem_id 0
		.amdhsa_next_free_vgpr 19
		.amdhsa_next_free_sgpr 10
		.amdhsa_accum_offset 20
		.amdhsa_reserve_vcc 1
		.amdhsa_reserve_flat_scratch 0
		.amdhsa_float_round_mode_32 0
		.amdhsa_float_round_mode_16_64 0
		.amdhsa_float_denorm_mode_32 3
		.amdhsa_float_denorm_mode_16_64 3
		.amdhsa_dx10_clamp 1
		.amdhsa_ieee_mode 1
		.amdhsa_fp16_overflow 0
		.amdhsa_tg_split 0
		.amdhsa_exception_fp_ieee_invalid_op 0
		.amdhsa_exception_fp_denorm_src 0
		.amdhsa_exception_fp_ieee_div_zero 0
		.amdhsa_exception_fp_ieee_overflow 0
		.amdhsa_exception_fp_ieee_underflow 0
		.amdhsa_exception_fp_ieee_inexact 0
		.amdhsa_exception_int_div_zero 0
	.end_amdhsa_kernel
	.section	.text._Z20warp_exchange_kernelILj128ELj16ELj16ELN6hipcub21WarpExchangeAlgorithmE1E18BlockedToStripedOpiEvPT4_,"axG",@progbits,_Z20warp_exchange_kernelILj128ELj16ELj16ELN6hipcub21WarpExchangeAlgorithmE1E18BlockedToStripedOpiEvPT4_,comdat
.Lfunc_end12:
	.size	_Z20warp_exchange_kernelILj128ELj16ELj16ELN6hipcub21WarpExchangeAlgorithmE1E18BlockedToStripedOpiEvPT4_, .Lfunc_end12-_Z20warp_exchange_kernelILj128ELj16ELj16ELN6hipcub21WarpExchangeAlgorithmE1E18BlockedToStripedOpiEvPT4_
                                        ; -- End function
	.section	.AMDGPU.csdata,"",@progbits
; Kernel info:
; codeLenInByte = 1888
; NumSgprs: 14
; NumVgprs: 19
; NumAgprs: 0
; TotalNumVgprs: 19
; ScratchSize: 80
; MemoryBound: 0
; FloatMode: 240
; IeeeMode: 1
; LDSByteSize: 0 bytes/workgroup (compile time only)
; SGPRBlocks: 1
; VGPRBlocks: 2
; NumSGPRsForWavesPerEU: 14
; NumVGPRsForWavesPerEU: 19
; AccumOffset: 20
; Occupancy: 8
; WaveLimiterHint : 0
; COMPUTE_PGM_RSRC2:SCRATCH_EN: 1
; COMPUTE_PGM_RSRC2:USER_SGPR: 8
; COMPUTE_PGM_RSRC2:TRAP_HANDLER: 0
; COMPUTE_PGM_RSRC2:TGID_X_EN: 1
; COMPUTE_PGM_RSRC2:TGID_Y_EN: 0
; COMPUTE_PGM_RSRC2:TGID_Z_EN: 0
; COMPUTE_PGM_RSRC2:TIDIG_COMP_CNT: 0
; COMPUTE_PGM_RSRC3_GFX90A:ACCUM_OFFSET: 4
; COMPUTE_PGM_RSRC3_GFX90A:TG_SPLIT: 0
	.section	.text._Z20warp_exchange_kernelILj128ELj4ELj16ELN6hipcub21WarpExchangeAlgorithmE1E18StripedToBlockedOpiEvPT4_,"axG",@progbits,_Z20warp_exchange_kernelILj128ELj4ELj16ELN6hipcub21WarpExchangeAlgorithmE1E18StripedToBlockedOpiEvPT4_,comdat
	.protected	_Z20warp_exchange_kernelILj128ELj4ELj16ELN6hipcub21WarpExchangeAlgorithmE1E18StripedToBlockedOpiEvPT4_ ; -- Begin function _Z20warp_exchange_kernelILj128ELj4ELj16ELN6hipcub21WarpExchangeAlgorithmE1E18StripedToBlockedOpiEvPT4_
	.globl	_Z20warp_exchange_kernelILj128ELj4ELj16ELN6hipcub21WarpExchangeAlgorithmE1E18StripedToBlockedOpiEvPT4_
	.p2align	8
	.type	_Z20warp_exchange_kernelILj128ELj4ELj16ELN6hipcub21WarpExchangeAlgorithmE1E18StripedToBlockedOpiEvPT4_,@function
_Z20warp_exchange_kernelILj128ELj4ELj16ELN6hipcub21WarpExchangeAlgorithmE1E18StripedToBlockedOpiEvPT4_: ; @_Z20warp_exchange_kernelILj128ELj4ELj16ELN6hipcub21WarpExchangeAlgorithmE1E18StripedToBlockedOpiEvPT4_
; %bb.0:
	v_mbcnt_lo_u32_b32 v2, -1, 0
	v_mbcnt_hi_u32_b32 v2, -1, v2
	v_lshlrev_b32_e32 v3, 2, v2
	v_and_b32_e32 v5, 0x70, v2
	v_and_or_b32 v3, v3, 12, v5
	v_mov_b32_e32 v1, 0
	v_mov_b32_e32 v5, 1
	v_lshlrev_b32_e32 v6, 2, v3
	v_mov_b32_e32 v4, 2
	ds_bpermute_b32 v3, v6, v1
	ds_bpermute_b32 v7, v6, v5
	;; [unrolled: 1-line block ×3, first 2 shown]
	v_bfe_u32 v2, v2, 2, 2
	v_cmp_eq_u32_e32 vcc, 1, v2
	v_mov_b32_e32 v9, 3
	s_waitcnt lgkmcnt(1)
	v_cndmask_b32_e32 v3, v3, v7, vcc
	v_cmp_eq_u32_e64 s[0:1], 2, v2
	s_waitcnt lgkmcnt(0)
	v_cndmask_b32_e64 v3, v3, v8, s[0:1]
	ds_bpermute_b32 v7, v6, v9
	ds_bpermute_b32 v8, v6, v1 offset:4
	ds_bpermute_b32 v10, v6, v5 offset:4
	;; [unrolled: 1-line block ×4, first 2 shown]
	v_cmp_eq_u32_e64 s[2:3], 3, v2
	s_waitcnt lgkmcnt(4)
	v_cndmask_b32_e64 v2, v3, v7, s[2:3]
	s_waitcnt lgkmcnt(2)
	v_cndmask_b32_e32 v3, v8, v10, vcc
	ds_bpermute_b32 v14, v6, v5 offset:8
	s_waitcnt lgkmcnt(2)
	v_cndmask_b32_e64 v3, v3, v11, s[0:1]
	ds_bpermute_b32 v11, v6, v1 offset:12
	ds_bpermute_b32 v5, v6, v5 offset:12
	;; [unrolled: 1-line block ×3, first 2 shown]
	s_waitcnt lgkmcnt(4)
	v_cndmask_b32_e64 v3, v3, v12, s[2:3]
	ds_bpermute_b32 v12, v6, v4 offset:12
	s_load_dwordx2 s[4:5], s[4:5], 0x0
	ds_bpermute_b32 v8, v6, v4 offset:8
	ds_bpermute_b32 v10, v6, v9 offset:8
	ds_bpermute_b32 v6, v6, v9 offset:12
	v_lshlrev_b32_e32 v0, 2, v0
	s_waitcnt lgkmcnt(0)
	v_cndmask_b32_e32 v5, v11, v5, vcc
	v_lshl_or_b32 v0, s6, 9, v0
	v_cndmask_b32_e32 v7, v13, v14, vcc
	v_cndmask_b32_e64 v5, v5, v12, s[0:1]
	v_lshlrev_b64 v[0:1], 2, v[0:1]
	v_cndmask_b32_e64 v4, v7, v8, s[0:1]
	v_cndmask_b32_e64 v5, v5, v6, s[2:3]
	v_mov_b32_e32 v6, s5
	v_add_co_u32_e32 v0, vcc, s4, v0
	v_cndmask_b32_e64 v4, v4, v10, s[2:3]
	v_addc_co_u32_e32 v1, vcc, v6, v1, vcc
	global_store_dwordx4 v[0:1], v[2:5], off
	s_endpgm
	.section	.rodata,"a",@progbits
	.p2align	6, 0x0
	.amdhsa_kernel _Z20warp_exchange_kernelILj128ELj4ELj16ELN6hipcub21WarpExchangeAlgorithmE1E18StripedToBlockedOpiEvPT4_
		.amdhsa_group_segment_fixed_size 0
		.amdhsa_private_segment_fixed_size 0
		.amdhsa_kernarg_size 8
		.amdhsa_user_sgpr_count 6
		.amdhsa_user_sgpr_private_segment_buffer 1
		.amdhsa_user_sgpr_dispatch_ptr 0
		.amdhsa_user_sgpr_queue_ptr 0
		.amdhsa_user_sgpr_kernarg_segment_ptr 1
		.amdhsa_user_sgpr_dispatch_id 0
		.amdhsa_user_sgpr_flat_scratch_init 0
		.amdhsa_user_sgpr_kernarg_preload_length 0
		.amdhsa_user_sgpr_kernarg_preload_offset 0
		.amdhsa_user_sgpr_private_segment_size 0
		.amdhsa_uses_dynamic_stack 0
		.amdhsa_system_sgpr_private_segment_wavefront_offset 0
		.amdhsa_system_sgpr_workgroup_id_x 1
		.amdhsa_system_sgpr_workgroup_id_y 0
		.amdhsa_system_sgpr_workgroup_id_z 0
		.amdhsa_system_sgpr_workgroup_info 0
		.amdhsa_system_vgpr_workitem_id 0
		.amdhsa_next_free_vgpr 15
		.amdhsa_next_free_sgpr 7
		.amdhsa_accum_offset 16
		.amdhsa_reserve_vcc 1
		.amdhsa_reserve_flat_scratch 0
		.amdhsa_float_round_mode_32 0
		.amdhsa_float_round_mode_16_64 0
		.amdhsa_float_denorm_mode_32 3
		.amdhsa_float_denorm_mode_16_64 3
		.amdhsa_dx10_clamp 1
		.amdhsa_ieee_mode 1
		.amdhsa_fp16_overflow 0
		.amdhsa_tg_split 0
		.amdhsa_exception_fp_ieee_invalid_op 0
		.amdhsa_exception_fp_denorm_src 0
		.amdhsa_exception_fp_ieee_div_zero 0
		.amdhsa_exception_fp_ieee_overflow 0
		.amdhsa_exception_fp_ieee_underflow 0
		.amdhsa_exception_fp_ieee_inexact 0
		.amdhsa_exception_int_div_zero 0
	.end_amdhsa_kernel
	.section	.text._Z20warp_exchange_kernelILj128ELj4ELj16ELN6hipcub21WarpExchangeAlgorithmE1E18StripedToBlockedOpiEvPT4_,"axG",@progbits,_Z20warp_exchange_kernelILj128ELj4ELj16ELN6hipcub21WarpExchangeAlgorithmE1E18StripedToBlockedOpiEvPT4_,comdat
.Lfunc_end13:
	.size	_Z20warp_exchange_kernelILj128ELj4ELj16ELN6hipcub21WarpExchangeAlgorithmE1E18StripedToBlockedOpiEvPT4_, .Lfunc_end13-_Z20warp_exchange_kernelILj128ELj4ELj16ELN6hipcub21WarpExchangeAlgorithmE1E18StripedToBlockedOpiEvPT4_
                                        ; -- End function
	.section	.AMDGPU.csdata,"",@progbits
; Kernel info:
; codeLenInByte = 372
; NumSgprs: 11
; NumVgprs: 15
; NumAgprs: 0
; TotalNumVgprs: 15
; ScratchSize: 0
; MemoryBound: 0
; FloatMode: 240
; IeeeMode: 1
; LDSByteSize: 0 bytes/workgroup (compile time only)
; SGPRBlocks: 1
; VGPRBlocks: 1
; NumSGPRsForWavesPerEU: 11
; NumVGPRsForWavesPerEU: 15
; AccumOffset: 16
; Occupancy: 8
; WaveLimiterHint : 0
; COMPUTE_PGM_RSRC2:SCRATCH_EN: 0
; COMPUTE_PGM_RSRC2:USER_SGPR: 6
; COMPUTE_PGM_RSRC2:TRAP_HANDLER: 0
; COMPUTE_PGM_RSRC2:TGID_X_EN: 1
; COMPUTE_PGM_RSRC2:TGID_Y_EN: 0
; COMPUTE_PGM_RSRC2:TGID_Z_EN: 0
; COMPUTE_PGM_RSRC2:TIDIG_COMP_CNT: 0
; COMPUTE_PGM_RSRC3_GFX90A:ACCUM_OFFSET: 3
; COMPUTE_PGM_RSRC3_GFX90A:TG_SPLIT: 0
	.section	.text._Z20warp_exchange_kernelILj128ELj4ELj16ELN6hipcub21WarpExchangeAlgorithmE1E18BlockedToStripedOpiEvPT4_,"axG",@progbits,_Z20warp_exchange_kernelILj128ELj4ELj16ELN6hipcub21WarpExchangeAlgorithmE1E18BlockedToStripedOpiEvPT4_,comdat
	.protected	_Z20warp_exchange_kernelILj128ELj4ELj16ELN6hipcub21WarpExchangeAlgorithmE1E18BlockedToStripedOpiEvPT4_ ; -- Begin function _Z20warp_exchange_kernelILj128ELj4ELj16ELN6hipcub21WarpExchangeAlgorithmE1E18BlockedToStripedOpiEvPT4_
	.globl	_Z20warp_exchange_kernelILj128ELj4ELj16ELN6hipcub21WarpExchangeAlgorithmE1E18BlockedToStripedOpiEvPT4_
	.p2align	8
	.type	_Z20warp_exchange_kernelILj128ELj4ELj16ELN6hipcub21WarpExchangeAlgorithmE1E18BlockedToStripedOpiEvPT4_,@function
_Z20warp_exchange_kernelILj128ELj4ELj16ELN6hipcub21WarpExchangeAlgorithmE1E18BlockedToStripedOpiEvPT4_: ; @_Z20warp_exchange_kernelILj128ELj4ELj16ELN6hipcub21WarpExchangeAlgorithmE1E18BlockedToStripedOpiEvPT4_
; %bb.0:
	v_mbcnt_lo_u32_b32 v2, -1, 0
	v_mbcnt_hi_u32_b32 v2, -1, v2
	v_lshlrev_b32_e32 v3, 2, v2
	v_and_b32_e32 v6, 12, v2
	s_movk_i32 s0, 0x1c0
	v_mov_b32_e32 v1, 0
	v_mov_b32_e32 v5, 1
	v_and_or_b32 v6, v3, s0, v6
	ds_bpermute_b32 v3, v6, v1
	ds_bpermute_b32 v7, v6, v5
	v_mov_b32_e32 v8, 2
	ds_bpermute_b32 v9, v6, v8
	v_and_b32_e32 v2, 3, v2
	v_cmp_eq_u32_e32 vcc, 1, v2
	v_mov_b32_e32 v4, 3
	s_waitcnt lgkmcnt(1)
	v_cndmask_b32_e32 v3, v3, v7, vcc
	v_cmp_eq_u32_e64 s[0:1], 2, v2
	s_waitcnt lgkmcnt(0)
	v_cndmask_b32_e64 v3, v3, v9, s[0:1]
	ds_bpermute_b32 v7, v6, v4
	ds_bpermute_b32 v9, v6, v1 offset:16
	ds_bpermute_b32 v10, v6, v5 offset:16
	;; [unrolled: 1-line block ×3, first 2 shown]
	v_cmp_eq_u32_e64 s[2:3], 3, v2
	s_waitcnt lgkmcnt(3)
	v_cndmask_b32_e64 v2, v3, v7, s[2:3]
	ds_bpermute_b32 v14, v6, v5 offset:32
	s_waitcnt lgkmcnt(2)
	v_cndmask_b32_e32 v3, v9, v10, vcc
	s_waitcnt lgkmcnt(1)
	v_cndmask_b32_e64 v3, v3, v11, s[0:1]
	ds_bpermute_b32 v11, v6, v1 offset:48
	ds_bpermute_b32 v5, v6, v5 offset:48
	;; [unrolled: 1-line block ×5, first 2 shown]
	s_load_dwordx2 s[4:5], s[4:5], 0x0
	ds_bpermute_b32 v12, v6, v4 offset:16
	ds_bpermute_b32 v10, v6, v4 offset:32
	;; [unrolled: 1-line block ×3, first 2 shown]
	v_lshlrev_b32_e32 v0, 2, v0
	s_waitcnt lgkmcnt(0)
	v_cndmask_b32_e32 v5, v11, v5, vcc
	v_lshl_or_b32 v0, s6, 9, v0
	v_cndmask_b32_e32 v7, v13, v14, vcc
	v_cndmask_b32_e64 v5, v5, v8, s[0:1]
	v_lshlrev_b64 v[0:1], 2, v[0:1]
	v_cndmask_b32_e64 v4, v7, v9, s[0:1]
	v_cndmask_b32_e64 v5, v5, v6, s[2:3]
	v_mov_b32_e32 v6, s5
	v_add_co_u32_e32 v0, vcc, s4, v0
	v_cndmask_b32_e64 v3, v3, v12, s[2:3]
	v_cndmask_b32_e64 v4, v4, v10, s[2:3]
	v_addc_co_u32_e32 v1, vcc, v6, v1, vcc
	global_store_dwordx4 v[0:1], v[2:5], off
	s_endpgm
	.section	.rodata,"a",@progbits
	.p2align	6, 0x0
	.amdhsa_kernel _Z20warp_exchange_kernelILj128ELj4ELj16ELN6hipcub21WarpExchangeAlgorithmE1E18BlockedToStripedOpiEvPT4_
		.amdhsa_group_segment_fixed_size 0
		.amdhsa_private_segment_fixed_size 0
		.amdhsa_kernarg_size 8
		.amdhsa_user_sgpr_count 6
		.amdhsa_user_sgpr_private_segment_buffer 1
		.amdhsa_user_sgpr_dispatch_ptr 0
		.amdhsa_user_sgpr_queue_ptr 0
		.amdhsa_user_sgpr_kernarg_segment_ptr 1
		.amdhsa_user_sgpr_dispatch_id 0
		.amdhsa_user_sgpr_flat_scratch_init 0
		.amdhsa_user_sgpr_kernarg_preload_length 0
		.amdhsa_user_sgpr_kernarg_preload_offset 0
		.amdhsa_user_sgpr_private_segment_size 0
		.amdhsa_uses_dynamic_stack 0
		.amdhsa_system_sgpr_private_segment_wavefront_offset 0
		.amdhsa_system_sgpr_workgroup_id_x 1
		.amdhsa_system_sgpr_workgroup_id_y 0
		.amdhsa_system_sgpr_workgroup_id_z 0
		.amdhsa_system_sgpr_workgroup_info 0
		.amdhsa_system_vgpr_workitem_id 0
		.amdhsa_next_free_vgpr 15
		.amdhsa_next_free_sgpr 7
		.amdhsa_accum_offset 16
		.amdhsa_reserve_vcc 1
		.amdhsa_reserve_flat_scratch 0
		.amdhsa_float_round_mode_32 0
		.amdhsa_float_round_mode_16_64 0
		.amdhsa_float_denorm_mode_32 3
		.amdhsa_float_denorm_mode_16_64 3
		.amdhsa_dx10_clamp 1
		.amdhsa_ieee_mode 1
		.amdhsa_fp16_overflow 0
		.amdhsa_tg_split 0
		.amdhsa_exception_fp_ieee_invalid_op 0
		.amdhsa_exception_fp_denorm_src 0
		.amdhsa_exception_fp_ieee_div_zero 0
		.amdhsa_exception_fp_ieee_overflow 0
		.amdhsa_exception_fp_ieee_underflow 0
		.amdhsa_exception_fp_ieee_inexact 0
		.amdhsa_exception_int_div_zero 0
	.end_amdhsa_kernel
	.section	.text._Z20warp_exchange_kernelILj128ELj4ELj16ELN6hipcub21WarpExchangeAlgorithmE1E18BlockedToStripedOpiEvPT4_,"axG",@progbits,_Z20warp_exchange_kernelILj128ELj4ELj16ELN6hipcub21WarpExchangeAlgorithmE1E18BlockedToStripedOpiEvPT4_,comdat
.Lfunc_end14:
	.size	_Z20warp_exchange_kernelILj128ELj4ELj16ELN6hipcub21WarpExchangeAlgorithmE1E18BlockedToStripedOpiEvPT4_, .Lfunc_end14-_Z20warp_exchange_kernelILj128ELj4ELj16ELN6hipcub21WarpExchangeAlgorithmE1E18BlockedToStripedOpiEvPT4_
                                        ; -- End function
	.section	.AMDGPU.csdata,"",@progbits
; Kernel info:
; codeLenInByte = 360
; NumSgprs: 11
; NumVgprs: 15
; NumAgprs: 0
; TotalNumVgprs: 15
; ScratchSize: 0
; MemoryBound: 0
; FloatMode: 240
; IeeeMode: 1
; LDSByteSize: 0 bytes/workgroup (compile time only)
; SGPRBlocks: 1
; VGPRBlocks: 1
; NumSGPRsForWavesPerEU: 11
; NumVGPRsForWavesPerEU: 15
; AccumOffset: 16
; Occupancy: 8
; WaveLimiterHint : 0
; COMPUTE_PGM_RSRC2:SCRATCH_EN: 0
; COMPUTE_PGM_RSRC2:USER_SGPR: 6
; COMPUTE_PGM_RSRC2:TRAP_HANDLER: 0
; COMPUTE_PGM_RSRC2:TGID_X_EN: 1
; COMPUTE_PGM_RSRC2:TGID_Y_EN: 0
; COMPUTE_PGM_RSRC2:TGID_Z_EN: 0
; COMPUTE_PGM_RSRC2:TIDIG_COMP_CNT: 0
; COMPUTE_PGM_RSRC3_GFX90A:ACCUM_OFFSET: 3
; COMPUTE_PGM_RSRC3_GFX90A:TG_SPLIT: 0
	.section	.text._Z20warp_exchange_kernelILj128ELj4ELj32ELN6hipcub21WarpExchangeAlgorithmE1E18StripedToBlockedOpiEvPT4_,"axG",@progbits,_Z20warp_exchange_kernelILj128ELj4ELj32ELN6hipcub21WarpExchangeAlgorithmE1E18StripedToBlockedOpiEvPT4_,comdat
	.protected	_Z20warp_exchange_kernelILj128ELj4ELj32ELN6hipcub21WarpExchangeAlgorithmE1E18StripedToBlockedOpiEvPT4_ ; -- Begin function _Z20warp_exchange_kernelILj128ELj4ELj32ELN6hipcub21WarpExchangeAlgorithmE1E18StripedToBlockedOpiEvPT4_
	.globl	_Z20warp_exchange_kernelILj128ELj4ELj32ELN6hipcub21WarpExchangeAlgorithmE1E18StripedToBlockedOpiEvPT4_
	.p2align	8
	.type	_Z20warp_exchange_kernelILj128ELj4ELj32ELN6hipcub21WarpExchangeAlgorithmE1E18StripedToBlockedOpiEvPT4_,@function
_Z20warp_exchange_kernelILj128ELj4ELj32ELN6hipcub21WarpExchangeAlgorithmE1E18StripedToBlockedOpiEvPT4_: ; @_Z20warp_exchange_kernelILj128ELj4ELj32ELN6hipcub21WarpExchangeAlgorithmE1E18StripedToBlockedOpiEvPT4_
; %bb.0:
	v_mbcnt_lo_u32_b32 v2, -1, 0
	v_mbcnt_hi_u32_b32 v2, -1, v2
	v_lshlrev_b32_e32 v3, 2, v2
	v_and_b32_e32 v5, 0x60, v2
	v_and_or_b32 v3, v3, 28, v5
	v_mov_b32_e32 v1, 0
	v_mov_b32_e32 v5, 1
	v_lshlrev_b32_e32 v6, 2, v3
	v_mov_b32_e32 v4, 2
	ds_bpermute_b32 v3, v6, v1
	ds_bpermute_b32 v7, v6, v5
	;; [unrolled: 1-line block ×3, first 2 shown]
	v_bfe_u32 v2, v2, 3, 2
	v_cmp_eq_u32_e32 vcc, 1, v2
	v_mov_b32_e32 v9, 3
	s_waitcnt lgkmcnt(1)
	v_cndmask_b32_e32 v3, v3, v7, vcc
	v_cmp_eq_u32_e64 s[0:1], 2, v2
	s_waitcnt lgkmcnt(0)
	v_cndmask_b32_e64 v3, v3, v8, s[0:1]
	ds_bpermute_b32 v7, v6, v9
	ds_bpermute_b32 v8, v6, v1 offset:4
	ds_bpermute_b32 v10, v6, v5 offset:4
	;; [unrolled: 1-line block ×4, first 2 shown]
	v_cmp_eq_u32_e64 s[2:3], 3, v2
	s_waitcnt lgkmcnt(4)
	v_cndmask_b32_e64 v2, v3, v7, s[2:3]
	s_waitcnt lgkmcnt(2)
	v_cndmask_b32_e32 v3, v8, v10, vcc
	ds_bpermute_b32 v14, v6, v5 offset:8
	s_waitcnt lgkmcnt(2)
	v_cndmask_b32_e64 v3, v3, v11, s[0:1]
	ds_bpermute_b32 v11, v6, v1 offset:12
	ds_bpermute_b32 v5, v6, v5 offset:12
	;; [unrolled: 1-line block ×3, first 2 shown]
	s_waitcnt lgkmcnt(4)
	v_cndmask_b32_e64 v3, v3, v12, s[2:3]
	ds_bpermute_b32 v12, v6, v4 offset:12
	s_load_dwordx2 s[4:5], s[4:5], 0x0
	ds_bpermute_b32 v8, v6, v4 offset:8
	ds_bpermute_b32 v10, v6, v9 offset:8
	ds_bpermute_b32 v6, v6, v9 offset:12
	v_lshlrev_b32_e32 v0, 2, v0
	s_waitcnt lgkmcnt(0)
	v_cndmask_b32_e32 v5, v11, v5, vcc
	v_lshl_or_b32 v0, s6, 9, v0
	v_cndmask_b32_e32 v7, v13, v14, vcc
	v_cndmask_b32_e64 v5, v5, v12, s[0:1]
	v_lshlrev_b64 v[0:1], 2, v[0:1]
	v_cndmask_b32_e64 v4, v7, v8, s[0:1]
	v_cndmask_b32_e64 v5, v5, v6, s[2:3]
	v_mov_b32_e32 v6, s5
	v_add_co_u32_e32 v0, vcc, s4, v0
	v_cndmask_b32_e64 v4, v4, v10, s[2:3]
	v_addc_co_u32_e32 v1, vcc, v6, v1, vcc
	global_store_dwordx4 v[0:1], v[2:5], off
	s_endpgm
	.section	.rodata,"a",@progbits
	.p2align	6, 0x0
	.amdhsa_kernel _Z20warp_exchange_kernelILj128ELj4ELj32ELN6hipcub21WarpExchangeAlgorithmE1E18StripedToBlockedOpiEvPT4_
		.amdhsa_group_segment_fixed_size 0
		.amdhsa_private_segment_fixed_size 0
		.amdhsa_kernarg_size 8
		.amdhsa_user_sgpr_count 6
		.amdhsa_user_sgpr_private_segment_buffer 1
		.amdhsa_user_sgpr_dispatch_ptr 0
		.amdhsa_user_sgpr_queue_ptr 0
		.amdhsa_user_sgpr_kernarg_segment_ptr 1
		.amdhsa_user_sgpr_dispatch_id 0
		.amdhsa_user_sgpr_flat_scratch_init 0
		.amdhsa_user_sgpr_kernarg_preload_length 0
		.amdhsa_user_sgpr_kernarg_preload_offset 0
		.amdhsa_user_sgpr_private_segment_size 0
		.amdhsa_uses_dynamic_stack 0
		.amdhsa_system_sgpr_private_segment_wavefront_offset 0
		.amdhsa_system_sgpr_workgroup_id_x 1
		.amdhsa_system_sgpr_workgroup_id_y 0
		.amdhsa_system_sgpr_workgroup_id_z 0
		.amdhsa_system_sgpr_workgroup_info 0
		.amdhsa_system_vgpr_workitem_id 0
		.amdhsa_next_free_vgpr 15
		.amdhsa_next_free_sgpr 7
		.amdhsa_accum_offset 16
		.amdhsa_reserve_vcc 1
		.amdhsa_reserve_flat_scratch 0
		.amdhsa_float_round_mode_32 0
		.amdhsa_float_round_mode_16_64 0
		.amdhsa_float_denorm_mode_32 3
		.amdhsa_float_denorm_mode_16_64 3
		.amdhsa_dx10_clamp 1
		.amdhsa_ieee_mode 1
		.amdhsa_fp16_overflow 0
		.amdhsa_tg_split 0
		.amdhsa_exception_fp_ieee_invalid_op 0
		.amdhsa_exception_fp_denorm_src 0
		.amdhsa_exception_fp_ieee_div_zero 0
		.amdhsa_exception_fp_ieee_overflow 0
		.amdhsa_exception_fp_ieee_underflow 0
		.amdhsa_exception_fp_ieee_inexact 0
		.amdhsa_exception_int_div_zero 0
	.end_amdhsa_kernel
	.section	.text._Z20warp_exchange_kernelILj128ELj4ELj32ELN6hipcub21WarpExchangeAlgorithmE1E18StripedToBlockedOpiEvPT4_,"axG",@progbits,_Z20warp_exchange_kernelILj128ELj4ELj32ELN6hipcub21WarpExchangeAlgorithmE1E18StripedToBlockedOpiEvPT4_,comdat
.Lfunc_end15:
	.size	_Z20warp_exchange_kernelILj128ELj4ELj32ELN6hipcub21WarpExchangeAlgorithmE1E18StripedToBlockedOpiEvPT4_, .Lfunc_end15-_Z20warp_exchange_kernelILj128ELj4ELj32ELN6hipcub21WarpExchangeAlgorithmE1E18StripedToBlockedOpiEvPT4_
                                        ; -- End function
	.section	.AMDGPU.csdata,"",@progbits
; Kernel info:
; codeLenInByte = 372
; NumSgprs: 11
; NumVgprs: 15
; NumAgprs: 0
; TotalNumVgprs: 15
; ScratchSize: 0
; MemoryBound: 0
; FloatMode: 240
; IeeeMode: 1
; LDSByteSize: 0 bytes/workgroup (compile time only)
; SGPRBlocks: 1
; VGPRBlocks: 1
; NumSGPRsForWavesPerEU: 11
; NumVGPRsForWavesPerEU: 15
; AccumOffset: 16
; Occupancy: 8
; WaveLimiterHint : 0
; COMPUTE_PGM_RSRC2:SCRATCH_EN: 0
; COMPUTE_PGM_RSRC2:USER_SGPR: 6
; COMPUTE_PGM_RSRC2:TRAP_HANDLER: 0
; COMPUTE_PGM_RSRC2:TGID_X_EN: 1
; COMPUTE_PGM_RSRC2:TGID_Y_EN: 0
; COMPUTE_PGM_RSRC2:TGID_Z_EN: 0
; COMPUTE_PGM_RSRC2:TIDIG_COMP_CNT: 0
; COMPUTE_PGM_RSRC3_GFX90A:ACCUM_OFFSET: 3
; COMPUTE_PGM_RSRC3_GFX90A:TG_SPLIT: 0
	.section	.text._Z20warp_exchange_kernelILj128ELj4ELj32ELN6hipcub21WarpExchangeAlgorithmE1E18BlockedToStripedOpiEvPT4_,"axG",@progbits,_Z20warp_exchange_kernelILj128ELj4ELj32ELN6hipcub21WarpExchangeAlgorithmE1E18BlockedToStripedOpiEvPT4_,comdat
	.protected	_Z20warp_exchange_kernelILj128ELj4ELj32ELN6hipcub21WarpExchangeAlgorithmE1E18BlockedToStripedOpiEvPT4_ ; -- Begin function _Z20warp_exchange_kernelILj128ELj4ELj32ELN6hipcub21WarpExchangeAlgorithmE1E18BlockedToStripedOpiEvPT4_
	.globl	_Z20warp_exchange_kernelILj128ELj4ELj32ELN6hipcub21WarpExchangeAlgorithmE1E18BlockedToStripedOpiEvPT4_
	.p2align	8
	.type	_Z20warp_exchange_kernelILj128ELj4ELj32ELN6hipcub21WarpExchangeAlgorithmE1E18BlockedToStripedOpiEvPT4_,@function
_Z20warp_exchange_kernelILj128ELj4ELj32ELN6hipcub21WarpExchangeAlgorithmE1E18BlockedToStripedOpiEvPT4_: ; @_Z20warp_exchange_kernelILj128ELj4ELj32ELN6hipcub21WarpExchangeAlgorithmE1E18BlockedToStripedOpiEvPT4_
; %bb.0:
	v_mbcnt_lo_u32_b32 v2, -1, 0
	v_mbcnt_hi_u32_b32 v2, -1, v2
	v_lshlrev_b32_e32 v3, 2, v2
	v_and_b32_e32 v6, 28, v2
	s_movk_i32 s0, 0x180
	v_mov_b32_e32 v1, 0
	v_mov_b32_e32 v5, 1
	v_and_or_b32 v6, v3, s0, v6
	ds_bpermute_b32 v3, v6, v1
	ds_bpermute_b32 v7, v6, v5
	v_mov_b32_e32 v8, 2
	ds_bpermute_b32 v9, v6, v8
	v_and_b32_e32 v2, 3, v2
	v_cmp_eq_u32_e32 vcc, 1, v2
	v_mov_b32_e32 v4, 3
	s_waitcnt lgkmcnt(1)
	v_cndmask_b32_e32 v3, v3, v7, vcc
	v_cmp_eq_u32_e64 s[0:1], 2, v2
	s_waitcnt lgkmcnt(0)
	v_cndmask_b32_e64 v3, v3, v9, s[0:1]
	ds_bpermute_b32 v7, v6, v4
	ds_bpermute_b32 v9, v6, v1 offset:32
	ds_bpermute_b32 v10, v6, v5 offset:32
	ds_bpermute_b32 v11, v6, v8 offset:32
	v_cmp_eq_u32_e64 s[2:3], 3, v2
	s_waitcnt lgkmcnt(3)
	v_cndmask_b32_e64 v2, v3, v7, s[2:3]
	ds_bpermute_b32 v14, v6, v5 offset:64
	s_waitcnt lgkmcnt(2)
	v_cndmask_b32_e32 v3, v9, v10, vcc
	s_waitcnt lgkmcnt(1)
	v_cndmask_b32_e64 v3, v3, v11, s[0:1]
	ds_bpermute_b32 v11, v6, v1 offset:96
	ds_bpermute_b32 v5, v6, v5 offset:96
	;; [unrolled: 1-line block ×5, first 2 shown]
	s_load_dwordx2 s[4:5], s[4:5], 0x0
	ds_bpermute_b32 v12, v6, v4 offset:32
	ds_bpermute_b32 v10, v6, v4 offset:64
	;; [unrolled: 1-line block ×3, first 2 shown]
	v_lshlrev_b32_e32 v0, 2, v0
	s_waitcnt lgkmcnt(0)
	v_cndmask_b32_e32 v5, v11, v5, vcc
	v_lshl_or_b32 v0, s6, 9, v0
	v_cndmask_b32_e32 v7, v13, v14, vcc
	v_cndmask_b32_e64 v5, v5, v8, s[0:1]
	v_lshlrev_b64 v[0:1], 2, v[0:1]
	v_cndmask_b32_e64 v4, v7, v9, s[0:1]
	v_cndmask_b32_e64 v5, v5, v6, s[2:3]
	v_mov_b32_e32 v6, s5
	v_add_co_u32_e32 v0, vcc, s4, v0
	v_cndmask_b32_e64 v3, v3, v12, s[2:3]
	v_cndmask_b32_e64 v4, v4, v10, s[2:3]
	v_addc_co_u32_e32 v1, vcc, v6, v1, vcc
	global_store_dwordx4 v[0:1], v[2:5], off
	s_endpgm
	.section	.rodata,"a",@progbits
	.p2align	6, 0x0
	.amdhsa_kernel _Z20warp_exchange_kernelILj128ELj4ELj32ELN6hipcub21WarpExchangeAlgorithmE1E18BlockedToStripedOpiEvPT4_
		.amdhsa_group_segment_fixed_size 0
		.amdhsa_private_segment_fixed_size 0
		.amdhsa_kernarg_size 8
		.amdhsa_user_sgpr_count 6
		.amdhsa_user_sgpr_private_segment_buffer 1
		.amdhsa_user_sgpr_dispatch_ptr 0
		.amdhsa_user_sgpr_queue_ptr 0
		.amdhsa_user_sgpr_kernarg_segment_ptr 1
		.amdhsa_user_sgpr_dispatch_id 0
		.amdhsa_user_sgpr_flat_scratch_init 0
		.amdhsa_user_sgpr_kernarg_preload_length 0
		.amdhsa_user_sgpr_kernarg_preload_offset 0
		.amdhsa_user_sgpr_private_segment_size 0
		.amdhsa_uses_dynamic_stack 0
		.amdhsa_system_sgpr_private_segment_wavefront_offset 0
		.amdhsa_system_sgpr_workgroup_id_x 1
		.amdhsa_system_sgpr_workgroup_id_y 0
		.amdhsa_system_sgpr_workgroup_id_z 0
		.amdhsa_system_sgpr_workgroup_info 0
		.amdhsa_system_vgpr_workitem_id 0
		.amdhsa_next_free_vgpr 15
		.amdhsa_next_free_sgpr 7
		.amdhsa_accum_offset 16
		.amdhsa_reserve_vcc 1
		.amdhsa_reserve_flat_scratch 0
		.amdhsa_float_round_mode_32 0
		.amdhsa_float_round_mode_16_64 0
		.amdhsa_float_denorm_mode_32 3
		.amdhsa_float_denorm_mode_16_64 3
		.amdhsa_dx10_clamp 1
		.amdhsa_ieee_mode 1
		.amdhsa_fp16_overflow 0
		.amdhsa_tg_split 0
		.amdhsa_exception_fp_ieee_invalid_op 0
		.amdhsa_exception_fp_denorm_src 0
		.amdhsa_exception_fp_ieee_div_zero 0
		.amdhsa_exception_fp_ieee_overflow 0
		.amdhsa_exception_fp_ieee_underflow 0
		.amdhsa_exception_fp_ieee_inexact 0
		.amdhsa_exception_int_div_zero 0
	.end_amdhsa_kernel
	.section	.text._Z20warp_exchange_kernelILj128ELj4ELj32ELN6hipcub21WarpExchangeAlgorithmE1E18BlockedToStripedOpiEvPT4_,"axG",@progbits,_Z20warp_exchange_kernelILj128ELj4ELj32ELN6hipcub21WarpExchangeAlgorithmE1E18BlockedToStripedOpiEvPT4_,comdat
.Lfunc_end16:
	.size	_Z20warp_exchange_kernelILj128ELj4ELj32ELN6hipcub21WarpExchangeAlgorithmE1E18BlockedToStripedOpiEvPT4_, .Lfunc_end16-_Z20warp_exchange_kernelILj128ELj4ELj32ELN6hipcub21WarpExchangeAlgorithmE1E18BlockedToStripedOpiEvPT4_
                                        ; -- End function
	.section	.AMDGPU.csdata,"",@progbits
; Kernel info:
; codeLenInByte = 360
; NumSgprs: 11
; NumVgprs: 15
; NumAgprs: 0
; TotalNumVgprs: 15
; ScratchSize: 0
; MemoryBound: 0
; FloatMode: 240
; IeeeMode: 1
; LDSByteSize: 0 bytes/workgroup (compile time only)
; SGPRBlocks: 1
; VGPRBlocks: 1
; NumSGPRsForWavesPerEU: 11
; NumVGPRsForWavesPerEU: 15
; AccumOffset: 16
; Occupancy: 8
; WaveLimiterHint : 0
; COMPUTE_PGM_RSRC2:SCRATCH_EN: 0
; COMPUTE_PGM_RSRC2:USER_SGPR: 6
; COMPUTE_PGM_RSRC2:TRAP_HANDLER: 0
; COMPUTE_PGM_RSRC2:TGID_X_EN: 1
; COMPUTE_PGM_RSRC2:TGID_Y_EN: 0
; COMPUTE_PGM_RSRC2:TGID_Z_EN: 0
; COMPUTE_PGM_RSRC2:TIDIG_COMP_CNT: 0
; COMPUTE_PGM_RSRC3_GFX90A:ACCUM_OFFSET: 3
; COMPUTE_PGM_RSRC3_GFX90A:TG_SPLIT: 0
	.section	.text._Z20warp_exchange_kernelILj256ELj4ELj32ELN6hipcub21WarpExchangeAlgorithmE1E18StripedToBlockedOpiEvPT4_,"axG",@progbits,_Z20warp_exchange_kernelILj256ELj4ELj32ELN6hipcub21WarpExchangeAlgorithmE1E18StripedToBlockedOpiEvPT4_,comdat
	.protected	_Z20warp_exchange_kernelILj256ELj4ELj32ELN6hipcub21WarpExchangeAlgorithmE1E18StripedToBlockedOpiEvPT4_ ; -- Begin function _Z20warp_exchange_kernelILj256ELj4ELj32ELN6hipcub21WarpExchangeAlgorithmE1E18StripedToBlockedOpiEvPT4_
	.globl	_Z20warp_exchange_kernelILj256ELj4ELj32ELN6hipcub21WarpExchangeAlgorithmE1E18StripedToBlockedOpiEvPT4_
	.p2align	8
	.type	_Z20warp_exchange_kernelILj256ELj4ELj32ELN6hipcub21WarpExchangeAlgorithmE1E18StripedToBlockedOpiEvPT4_,@function
_Z20warp_exchange_kernelILj256ELj4ELj32ELN6hipcub21WarpExchangeAlgorithmE1E18StripedToBlockedOpiEvPT4_: ; @_Z20warp_exchange_kernelILj256ELj4ELj32ELN6hipcub21WarpExchangeAlgorithmE1E18StripedToBlockedOpiEvPT4_
; %bb.0:
	v_mbcnt_lo_u32_b32 v2, -1, 0
	v_mbcnt_hi_u32_b32 v2, -1, v2
	v_lshlrev_b32_e32 v3, 2, v2
	v_and_b32_e32 v5, 0x60, v2
	v_and_or_b32 v3, v3, 28, v5
	v_mov_b32_e32 v1, 0
	v_mov_b32_e32 v5, 1
	v_lshlrev_b32_e32 v6, 2, v3
	v_mov_b32_e32 v4, 2
	ds_bpermute_b32 v3, v6, v1
	ds_bpermute_b32 v7, v6, v5
	;; [unrolled: 1-line block ×3, first 2 shown]
	v_bfe_u32 v2, v2, 3, 2
	v_cmp_eq_u32_e32 vcc, 1, v2
	v_mov_b32_e32 v9, 3
	s_waitcnt lgkmcnt(1)
	v_cndmask_b32_e32 v3, v3, v7, vcc
	v_cmp_eq_u32_e64 s[0:1], 2, v2
	s_waitcnt lgkmcnt(0)
	v_cndmask_b32_e64 v3, v3, v8, s[0:1]
	ds_bpermute_b32 v7, v6, v9
	ds_bpermute_b32 v8, v6, v1 offset:4
	ds_bpermute_b32 v10, v6, v5 offset:4
	;; [unrolled: 1-line block ×4, first 2 shown]
	v_cmp_eq_u32_e64 s[2:3], 3, v2
	s_waitcnt lgkmcnt(4)
	v_cndmask_b32_e64 v2, v3, v7, s[2:3]
	s_waitcnt lgkmcnt(2)
	v_cndmask_b32_e32 v3, v8, v10, vcc
	ds_bpermute_b32 v14, v6, v5 offset:8
	s_waitcnt lgkmcnt(2)
	v_cndmask_b32_e64 v3, v3, v11, s[0:1]
	ds_bpermute_b32 v11, v6, v1 offset:12
	ds_bpermute_b32 v5, v6, v5 offset:12
	;; [unrolled: 1-line block ×3, first 2 shown]
	s_waitcnt lgkmcnt(4)
	v_cndmask_b32_e64 v3, v3, v12, s[2:3]
	ds_bpermute_b32 v12, v6, v4 offset:12
	s_load_dwordx2 s[4:5], s[4:5], 0x0
	ds_bpermute_b32 v8, v6, v4 offset:8
	ds_bpermute_b32 v10, v6, v9 offset:8
	;; [unrolled: 1-line block ×3, first 2 shown]
	v_lshlrev_b32_e32 v0, 2, v0
	s_waitcnt lgkmcnt(0)
	v_cndmask_b32_e32 v5, v11, v5, vcc
	v_lshl_or_b32 v0, s6, 10, v0
	v_cndmask_b32_e32 v7, v13, v14, vcc
	v_cndmask_b32_e64 v5, v5, v12, s[0:1]
	v_lshlrev_b64 v[0:1], 2, v[0:1]
	v_cndmask_b32_e64 v4, v7, v8, s[0:1]
	v_cndmask_b32_e64 v5, v5, v6, s[2:3]
	v_mov_b32_e32 v6, s5
	v_add_co_u32_e32 v0, vcc, s4, v0
	v_cndmask_b32_e64 v4, v4, v10, s[2:3]
	v_addc_co_u32_e32 v1, vcc, v6, v1, vcc
	global_store_dwordx4 v[0:1], v[2:5], off
	s_endpgm
	.section	.rodata,"a",@progbits
	.p2align	6, 0x0
	.amdhsa_kernel _Z20warp_exchange_kernelILj256ELj4ELj32ELN6hipcub21WarpExchangeAlgorithmE1E18StripedToBlockedOpiEvPT4_
		.amdhsa_group_segment_fixed_size 0
		.amdhsa_private_segment_fixed_size 0
		.amdhsa_kernarg_size 8
		.amdhsa_user_sgpr_count 6
		.amdhsa_user_sgpr_private_segment_buffer 1
		.amdhsa_user_sgpr_dispatch_ptr 0
		.amdhsa_user_sgpr_queue_ptr 0
		.amdhsa_user_sgpr_kernarg_segment_ptr 1
		.amdhsa_user_sgpr_dispatch_id 0
		.amdhsa_user_sgpr_flat_scratch_init 0
		.amdhsa_user_sgpr_kernarg_preload_length 0
		.amdhsa_user_sgpr_kernarg_preload_offset 0
		.amdhsa_user_sgpr_private_segment_size 0
		.amdhsa_uses_dynamic_stack 0
		.amdhsa_system_sgpr_private_segment_wavefront_offset 0
		.amdhsa_system_sgpr_workgroup_id_x 1
		.amdhsa_system_sgpr_workgroup_id_y 0
		.amdhsa_system_sgpr_workgroup_id_z 0
		.amdhsa_system_sgpr_workgroup_info 0
		.amdhsa_system_vgpr_workitem_id 0
		.amdhsa_next_free_vgpr 15
		.amdhsa_next_free_sgpr 7
		.amdhsa_accum_offset 16
		.amdhsa_reserve_vcc 1
		.amdhsa_reserve_flat_scratch 0
		.amdhsa_float_round_mode_32 0
		.amdhsa_float_round_mode_16_64 0
		.amdhsa_float_denorm_mode_32 3
		.amdhsa_float_denorm_mode_16_64 3
		.amdhsa_dx10_clamp 1
		.amdhsa_ieee_mode 1
		.amdhsa_fp16_overflow 0
		.amdhsa_tg_split 0
		.amdhsa_exception_fp_ieee_invalid_op 0
		.amdhsa_exception_fp_denorm_src 0
		.amdhsa_exception_fp_ieee_div_zero 0
		.amdhsa_exception_fp_ieee_overflow 0
		.amdhsa_exception_fp_ieee_underflow 0
		.amdhsa_exception_fp_ieee_inexact 0
		.amdhsa_exception_int_div_zero 0
	.end_amdhsa_kernel
	.section	.text._Z20warp_exchange_kernelILj256ELj4ELj32ELN6hipcub21WarpExchangeAlgorithmE1E18StripedToBlockedOpiEvPT4_,"axG",@progbits,_Z20warp_exchange_kernelILj256ELj4ELj32ELN6hipcub21WarpExchangeAlgorithmE1E18StripedToBlockedOpiEvPT4_,comdat
.Lfunc_end17:
	.size	_Z20warp_exchange_kernelILj256ELj4ELj32ELN6hipcub21WarpExchangeAlgorithmE1E18StripedToBlockedOpiEvPT4_, .Lfunc_end17-_Z20warp_exchange_kernelILj256ELj4ELj32ELN6hipcub21WarpExchangeAlgorithmE1E18StripedToBlockedOpiEvPT4_
                                        ; -- End function
	.section	.AMDGPU.csdata,"",@progbits
; Kernel info:
; codeLenInByte = 372
; NumSgprs: 11
; NumVgprs: 15
; NumAgprs: 0
; TotalNumVgprs: 15
; ScratchSize: 0
; MemoryBound: 0
; FloatMode: 240
; IeeeMode: 1
; LDSByteSize: 0 bytes/workgroup (compile time only)
; SGPRBlocks: 1
; VGPRBlocks: 1
; NumSGPRsForWavesPerEU: 11
; NumVGPRsForWavesPerEU: 15
; AccumOffset: 16
; Occupancy: 8
; WaveLimiterHint : 0
; COMPUTE_PGM_RSRC2:SCRATCH_EN: 0
; COMPUTE_PGM_RSRC2:USER_SGPR: 6
; COMPUTE_PGM_RSRC2:TRAP_HANDLER: 0
; COMPUTE_PGM_RSRC2:TGID_X_EN: 1
; COMPUTE_PGM_RSRC2:TGID_Y_EN: 0
; COMPUTE_PGM_RSRC2:TGID_Z_EN: 0
; COMPUTE_PGM_RSRC2:TIDIG_COMP_CNT: 0
; COMPUTE_PGM_RSRC3_GFX90A:ACCUM_OFFSET: 3
; COMPUTE_PGM_RSRC3_GFX90A:TG_SPLIT: 0
	.section	.text._Z20warp_exchange_kernelILj256ELj4ELj32ELN6hipcub21WarpExchangeAlgorithmE1E18BlockedToStripedOpiEvPT4_,"axG",@progbits,_Z20warp_exchange_kernelILj256ELj4ELj32ELN6hipcub21WarpExchangeAlgorithmE1E18BlockedToStripedOpiEvPT4_,comdat
	.protected	_Z20warp_exchange_kernelILj256ELj4ELj32ELN6hipcub21WarpExchangeAlgorithmE1E18BlockedToStripedOpiEvPT4_ ; -- Begin function _Z20warp_exchange_kernelILj256ELj4ELj32ELN6hipcub21WarpExchangeAlgorithmE1E18BlockedToStripedOpiEvPT4_
	.globl	_Z20warp_exchange_kernelILj256ELj4ELj32ELN6hipcub21WarpExchangeAlgorithmE1E18BlockedToStripedOpiEvPT4_
	.p2align	8
	.type	_Z20warp_exchange_kernelILj256ELj4ELj32ELN6hipcub21WarpExchangeAlgorithmE1E18BlockedToStripedOpiEvPT4_,@function
_Z20warp_exchange_kernelILj256ELj4ELj32ELN6hipcub21WarpExchangeAlgorithmE1E18BlockedToStripedOpiEvPT4_: ; @_Z20warp_exchange_kernelILj256ELj4ELj32ELN6hipcub21WarpExchangeAlgorithmE1E18BlockedToStripedOpiEvPT4_
; %bb.0:
	v_mbcnt_lo_u32_b32 v2, -1, 0
	v_mbcnt_hi_u32_b32 v2, -1, v2
	v_lshlrev_b32_e32 v3, 2, v2
	v_and_b32_e32 v6, 28, v2
	s_movk_i32 s0, 0x180
	v_mov_b32_e32 v1, 0
	v_mov_b32_e32 v5, 1
	v_and_or_b32 v6, v3, s0, v6
	ds_bpermute_b32 v3, v6, v1
	ds_bpermute_b32 v7, v6, v5
	v_mov_b32_e32 v8, 2
	ds_bpermute_b32 v9, v6, v8
	v_and_b32_e32 v2, 3, v2
	v_cmp_eq_u32_e32 vcc, 1, v2
	v_mov_b32_e32 v4, 3
	s_waitcnt lgkmcnt(1)
	v_cndmask_b32_e32 v3, v3, v7, vcc
	v_cmp_eq_u32_e64 s[0:1], 2, v2
	s_waitcnt lgkmcnt(0)
	v_cndmask_b32_e64 v3, v3, v9, s[0:1]
	ds_bpermute_b32 v7, v6, v4
	ds_bpermute_b32 v9, v6, v1 offset:32
	ds_bpermute_b32 v10, v6, v5 offset:32
	;; [unrolled: 1-line block ×3, first 2 shown]
	v_cmp_eq_u32_e64 s[2:3], 3, v2
	s_waitcnt lgkmcnt(3)
	v_cndmask_b32_e64 v2, v3, v7, s[2:3]
	ds_bpermute_b32 v14, v6, v5 offset:64
	s_waitcnt lgkmcnt(2)
	v_cndmask_b32_e32 v3, v9, v10, vcc
	s_waitcnt lgkmcnt(1)
	v_cndmask_b32_e64 v3, v3, v11, s[0:1]
	ds_bpermute_b32 v11, v6, v1 offset:96
	ds_bpermute_b32 v5, v6, v5 offset:96
	;; [unrolled: 1-line block ×5, first 2 shown]
	s_load_dwordx2 s[4:5], s[4:5], 0x0
	ds_bpermute_b32 v12, v6, v4 offset:32
	ds_bpermute_b32 v10, v6, v4 offset:64
	;; [unrolled: 1-line block ×3, first 2 shown]
	v_lshlrev_b32_e32 v0, 2, v0
	s_waitcnt lgkmcnt(0)
	v_cndmask_b32_e32 v5, v11, v5, vcc
	v_lshl_or_b32 v0, s6, 10, v0
	v_cndmask_b32_e32 v7, v13, v14, vcc
	v_cndmask_b32_e64 v5, v5, v8, s[0:1]
	v_lshlrev_b64 v[0:1], 2, v[0:1]
	v_cndmask_b32_e64 v4, v7, v9, s[0:1]
	v_cndmask_b32_e64 v5, v5, v6, s[2:3]
	v_mov_b32_e32 v6, s5
	v_add_co_u32_e32 v0, vcc, s4, v0
	v_cndmask_b32_e64 v3, v3, v12, s[2:3]
	v_cndmask_b32_e64 v4, v4, v10, s[2:3]
	v_addc_co_u32_e32 v1, vcc, v6, v1, vcc
	global_store_dwordx4 v[0:1], v[2:5], off
	s_endpgm
	.section	.rodata,"a",@progbits
	.p2align	6, 0x0
	.amdhsa_kernel _Z20warp_exchange_kernelILj256ELj4ELj32ELN6hipcub21WarpExchangeAlgorithmE1E18BlockedToStripedOpiEvPT4_
		.amdhsa_group_segment_fixed_size 0
		.amdhsa_private_segment_fixed_size 0
		.amdhsa_kernarg_size 8
		.amdhsa_user_sgpr_count 6
		.amdhsa_user_sgpr_private_segment_buffer 1
		.amdhsa_user_sgpr_dispatch_ptr 0
		.amdhsa_user_sgpr_queue_ptr 0
		.amdhsa_user_sgpr_kernarg_segment_ptr 1
		.amdhsa_user_sgpr_dispatch_id 0
		.amdhsa_user_sgpr_flat_scratch_init 0
		.amdhsa_user_sgpr_kernarg_preload_length 0
		.amdhsa_user_sgpr_kernarg_preload_offset 0
		.amdhsa_user_sgpr_private_segment_size 0
		.amdhsa_uses_dynamic_stack 0
		.amdhsa_system_sgpr_private_segment_wavefront_offset 0
		.amdhsa_system_sgpr_workgroup_id_x 1
		.amdhsa_system_sgpr_workgroup_id_y 0
		.amdhsa_system_sgpr_workgroup_id_z 0
		.amdhsa_system_sgpr_workgroup_info 0
		.amdhsa_system_vgpr_workitem_id 0
		.amdhsa_next_free_vgpr 15
		.amdhsa_next_free_sgpr 7
		.amdhsa_accum_offset 16
		.amdhsa_reserve_vcc 1
		.amdhsa_reserve_flat_scratch 0
		.amdhsa_float_round_mode_32 0
		.amdhsa_float_round_mode_16_64 0
		.amdhsa_float_denorm_mode_32 3
		.amdhsa_float_denorm_mode_16_64 3
		.amdhsa_dx10_clamp 1
		.amdhsa_ieee_mode 1
		.amdhsa_fp16_overflow 0
		.amdhsa_tg_split 0
		.amdhsa_exception_fp_ieee_invalid_op 0
		.amdhsa_exception_fp_denorm_src 0
		.amdhsa_exception_fp_ieee_div_zero 0
		.amdhsa_exception_fp_ieee_overflow 0
		.amdhsa_exception_fp_ieee_underflow 0
		.amdhsa_exception_fp_ieee_inexact 0
		.amdhsa_exception_int_div_zero 0
	.end_amdhsa_kernel
	.section	.text._Z20warp_exchange_kernelILj256ELj4ELj32ELN6hipcub21WarpExchangeAlgorithmE1E18BlockedToStripedOpiEvPT4_,"axG",@progbits,_Z20warp_exchange_kernelILj256ELj4ELj32ELN6hipcub21WarpExchangeAlgorithmE1E18BlockedToStripedOpiEvPT4_,comdat
.Lfunc_end18:
	.size	_Z20warp_exchange_kernelILj256ELj4ELj32ELN6hipcub21WarpExchangeAlgorithmE1E18BlockedToStripedOpiEvPT4_, .Lfunc_end18-_Z20warp_exchange_kernelILj256ELj4ELj32ELN6hipcub21WarpExchangeAlgorithmE1E18BlockedToStripedOpiEvPT4_
                                        ; -- End function
	.section	.AMDGPU.csdata,"",@progbits
; Kernel info:
; codeLenInByte = 360
; NumSgprs: 11
; NumVgprs: 15
; NumAgprs: 0
; TotalNumVgprs: 15
; ScratchSize: 0
; MemoryBound: 0
; FloatMode: 240
; IeeeMode: 1
; LDSByteSize: 0 bytes/workgroup (compile time only)
; SGPRBlocks: 1
; VGPRBlocks: 1
; NumSGPRsForWavesPerEU: 11
; NumVGPRsForWavesPerEU: 15
; AccumOffset: 16
; Occupancy: 8
; WaveLimiterHint : 0
; COMPUTE_PGM_RSRC2:SCRATCH_EN: 0
; COMPUTE_PGM_RSRC2:USER_SGPR: 6
; COMPUTE_PGM_RSRC2:TRAP_HANDLER: 0
; COMPUTE_PGM_RSRC2:TGID_X_EN: 1
; COMPUTE_PGM_RSRC2:TGID_Y_EN: 0
; COMPUTE_PGM_RSRC2:TGID_Z_EN: 0
; COMPUTE_PGM_RSRC2:TIDIG_COMP_CNT: 0
; COMPUTE_PGM_RSRC3_GFX90A:ACCUM_OFFSET: 3
; COMPUTE_PGM_RSRC3_GFX90A:TG_SPLIT: 0
	.section	.text._Z20warp_exchange_kernelILj128ELj4ELj64ELN6hipcub21WarpExchangeAlgorithmE0E18StripedToBlockedOpiEvPT4_,"axG",@progbits,_Z20warp_exchange_kernelILj128ELj4ELj64ELN6hipcub21WarpExchangeAlgorithmE0E18StripedToBlockedOpiEvPT4_,comdat
	.protected	_Z20warp_exchange_kernelILj128ELj4ELj64ELN6hipcub21WarpExchangeAlgorithmE0E18StripedToBlockedOpiEvPT4_ ; -- Begin function _Z20warp_exchange_kernelILj128ELj4ELj64ELN6hipcub21WarpExchangeAlgorithmE0E18StripedToBlockedOpiEvPT4_
	.globl	_Z20warp_exchange_kernelILj128ELj4ELj64ELN6hipcub21WarpExchangeAlgorithmE0E18StripedToBlockedOpiEvPT4_
	.p2align	8
	.type	_Z20warp_exchange_kernelILj128ELj4ELj64ELN6hipcub21WarpExchangeAlgorithmE0E18StripedToBlockedOpiEvPT4_,@function
_Z20warp_exchange_kernelILj128ELj4ELj64ELN6hipcub21WarpExchangeAlgorithmE0E18StripedToBlockedOpiEvPT4_: ; @_Z20warp_exchange_kernelILj128ELj4ELj64ELN6hipcub21WarpExchangeAlgorithmE0E18StripedToBlockedOpiEvPT4_
; %bb.0:
	v_lshlrev_b32_e32 v1, 4, v0
	v_mbcnt_lo_u32_b32 v3, -1, 0
	v_and_b32_e32 v2, 0x400, v1
	v_mbcnt_hi_u32_b32 v3, -1, v3
	s_load_dwordx2 s[0:1], s[4:5], 0x0
	v_mov_b32_e32 v1, 0
	v_lshl_or_b32 v5, v3, 2, v2
	v_mov_b32_e32 v6, 1
	v_lshlrev_b32_e32 v0, 2, v0
	v_mov_b32_e32 v4, 2
	ds_write2st64_b32 v5, v1, v6 offset1:1
	v_mov_b32_e32 v6, 3
	v_lshl_add_u32 v2, v3, 4, v2
	v_lshl_or_b32 v0, s6, 9, v0
	ds_write2st64_b32 v5, v4, v6 offset0:2 offset1:3
	; wave barrier
	v_lshlrev_b64 v[4:5], 2, v[0:1]
	ds_read_b128 v[0:3], v2
	s_waitcnt lgkmcnt(0)
	v_mov_b32_e32 v6, s1
	v_add_co_u32_e32 v4, vcc, s0, v4
	v_addc_co_u32_e32 v5, vcc, v6, v5, vcc
	global_store_dwordx4 v[4:5], v[0:3], off
	s_endpgm
	.section	.rodata,"a",@progbits
	.p2align	6, 0x0
	.amdhsa_kernel _Z20warp_exchange_kernelILj128ELj4ELj64ELN6hipcub21WarpExchangeAlgorithmE0E18StripedToBlockedOpiEvPT4_
		.amdhsa_group_segment_fixed_size 2048
		.amdhsa_private_segment_fixed_size 0
		.amdhsa_kernarg_size 8
		.amdhsa_user_sgpr_count 6
		.amdhsa_user_sgpr_private_segment_buffer 1
		.amdhsa_user_sgpr_dispatch_ptr 0
		.amdhsa_user_sgpr_queue_ptr 0
		.amdhsa_user_sgpr_kernarg_segment_ptr 1
		.amdhsa_user_sgpr_dispatch_id 0
		.amdhsa_user_sgpr_flat_scratch_init 0
		.amdhsa_user_sgpr_kernarg_preload_length 0
		.amdhsa_user_sgpr_kernarg_preload_offset 0
		.amdhsa_user_sgpr_private_segment_size 0
		.amdhsa_uses_dynamic_stack 0
		.amdhsa_system_sgpr_private_segment_wavefront_offset 0
		.amdhsa_system_sgpr_workgroup_id_x 1
		.amdhsa_system_sgpr_workgroup_id_y 0
		.amdhsa_system_sgpr_workgroup_id_z 0
		.amdhsa_system_sgpr_workgroup_info 0
		.amdhsa_system_vgpr_workitem_id 0
		.amdhsa_next_free_vgpr 7
		.amdhsa_next_free_sgpr 7
		.amdhsa_accum_offset 8
		.amdhsa_reserve_vcc 1
		.amdhsa_reserve_flat_scratch 0
		.amdhsa_float_round_mode_32 0
		.amdhsa_float_round_mode_16_64 0
		.amdhsa_float_denorm_mode_32 3
		.amdhsa_float_denorm_mode_16_64 3
		.amdhsa_dx10_clamp 1
		.amdhsa_ieee_mode 1
		.amdhsa_fp16_overflow 0
		.amdhsa_tg_split 0
		.amdhsa_exception_fp_ieee_invalid_op 0
		.amdhsa_exception_fp_denorm_src 0
		.amdhsa_exception_fp_ieee_div_zero 0
		.amdhsa_exception_fp_ieee_overflow 0
		.amdhsa_exception_fp_ieee_underflow 0
		.amdhsa_exception_fp_ieee_inexact 0
		.amdhsa_exception_int_div_zero 0
	.end_amdhsa_kernel
	.section	.text._Z20warp_exchange_kernelILj128ELj4ELj64ELN6hipcub21WarpExchangeAlgorithmE0E18StripedToBlockedOpiEvPT4_,"axG",@progbits,_Z20warp_exchange_kernelILj128ELj4ELj64ELN6hipcub21WarpExchangeAlgorithmE0E18StripedToBlockedOpiEvPT4_,comdat
.Lfunc_end19:
	.size	_Z20warp_exchange_kernelILj128ELj4ELj64ELN6hipcub21WarpExchangeAlgorithmE0E18StripedToBlockedOpiEvPT4_, .Lfunc_end19-_Z20warp_exchange_kernelILj128ELj4ELj64ELN6hipcub21WarpExchangeAlgorithmE0E18StripedToBlockedOpiEvPT4_
                                        ; -- End function
	.section	.AMDGPU.csdata,"",@progbits
; Kernel info:
; codeLenInByte = 140
; NumSgprs: 11
; NumVgprs: 7
; NumAgprs: 0
; TotalNumVgprs: 7
; ScratchSize: 0
; MemoryBound: 0
; FloatMode: 240
; IeeeMode: 1
; LDSByteSize: 2048 bytes/workgroup (compile time only)
; SGPRBlocks: 1
; VGPRBlocks: 0
; NumSGPRsForWavesPerEU: 11
; NumVGPRsForWavesPerEU: 7
; AccumOffset: 8
; Occupancy: 8
; WaveLimiterHint : 0
; COMPUTE_PGM_RSRC2:SCRATCH_EN: 0
; COMPUTE_PGM_RSRC2:USER_SGPR: 6
; COMPUTE_PGM_RSRC2:TRAP_HANDLER: 0
; COMPUTE_PGM_RSRC2:TGID_X_EN: 1
; COMPUTE_PGM_RSRC2:TGID_Y_EN: 0
; COMPUTE_PGM_RSRC2:TGID_Z_EN: 0
; COMPUTE_PGM_RSRC2:TIDIG_COMP_CNT: 0
; COMPUTE_PGM_RSRC3_GFX90A:ACCUM_OFFSET: 1
; COMPUTE_PGM_RSRC3_GFX90A:TG_SPLIT: 0
	.section	.text._Z20warp_exchange_kernelILj128ELj4ELj64ELN6hipcub21WarpExchangeAlgorithmE1E18StripedToBlockedOpiEvPT4_,"axG",@progbits,_Z20warp_exchange_kernelILj128ELj4ELj64ELN6hipcub21WarpExchangeAlgorithmE1E18StripedToBlockedOpiEvPT4_,comdat
	.protected	_Z20warp_exchange_kernelILj128ELj4ELj64ELN6hipcub21WarpExchangeAlgorithmE1E18StripedToBlockedOpiEvPT4_ ; -- Begin function _Z20warp_exchange_kernelILj128ELj4ELj64ELN6hipcub21WarpExchangeAlgorithmE1E18StripedToBlockedOpiEvPT4_
	.globl	_Z20warp_exchange_kernelILj128ELj4ELj64ELN6hipcub21WarpExchangeAlgorithmE1E18StripedToBlockedOpiEvPT4_
	.p2align	8
	.type	_Z20warp_exchange_kernelILj128ELj4ELj64ELN6hipcub21WarpExchangeAlgorithmE1E18StripedToBlockedOpiEvPT4_,@function
_Z20warp_exchange_kernelILj128ELj4ELj64ELN6hipcub21WarpExchangeAlgorithmE1E18StripedToBlockedOpiEvPT4_: ; @_Z20warp_exchange_kernelILj128ELj4ELj64ELN6hipcub21WarpExchangeAlgorithmE1E18StripedToBlockedOpiEvPT4_
; %bb.0:
	v_mbcnt_lo_u32_b32 v2, -1, 0
	v_mbcnt_hi_u32_b32 v2, -1, v2
	v_lshlrev_b32_e32 v3, 2, v2
	v_and_b32_e32 v5, 64, v2
	v_and_or_b32 v3, v3, 60, v5
	v_mov_b32_e32 v1, 0
	v_mov_b32_e32 v5, 1
	v_lshlrev_b32_e32 v6, 2, v3
	v_mov_b32_e32 v4, 2
	ds_bpermute_b32 v3, v6, v1
	ds_bpermute_b32 v7, v6, v5
	;; [unrolled: 1-line block ×3, first 2 shown]
	v_lshrrev_b32_e32 v2, 4, v2
	v_cmp_eq_u32_e32 vcc, 1, v2
	v_mov_b32_e32 v9, 3
	s_waitcnt lgkmcnt(1)
	v_cndmask_b32_e32 v3, v3, v7, vcc
	v_cmp_eq_u32_e64 s[0:1], 2, v2
	s_waitcnt lgkmcnt(0)
	v_cndmask_b32_e64 v3, v3, v8, s[0:1]
	ds_bpermute_b32 v7, v6, v9
	ds_bpermute_b32 v8, v6, v1 offset:4
	ds_bpermute_b32 v10, v6, v5 offset:4
	;; [unrolled: 1-line block ×4, first 2 shown]
	v_cmp_eq_u32_e64 s[2:3], 3, v2
	s_waitcnt lgkmcnt(4)
	v_cndmask_b32_e64 v2, v3, v7, s[2:3]
	s_waitcnt lgkmcnt(2)
	v_cndmask_b32_e32 v3, v8, v10, vcc
	ds_bpermute_b32 v14, v6, v5 offset:8
	s_waitcnt lgkmcnt(2)
	v_cndmask_b32_e64 v3, v3, v11, s[0:1]
	ds_bpermute_b32 v11, v6, v1 offset:12
	ds_bpermute_b32 v5, v6, v5 offset:12
	;; [unrolled: 1-line block ×3, first 2 shown]
	s_waitcnt lgkmcnt(4)
	v_cndmask_b32_e64 v3, v3, v12, s[2:3]
	ds_bpermute_b32 v12, v6, v4 offset:12
	s_load_dwordx2 s[4:5], s[4:5], 0x0
	ds_bpermute_b32 v8, v6, v4 offset:8
	ds_bpermute_b32 v10, v6, v9 offset:8
	;; [unrolled: 1-line block ×3, first 2 shown]
	v_lshlrev_b32_e32 v0, 2, v0
	s_waitcnt lgkmcnt(0)
	v_cndmask_b32_e32 v5, v11, v5, vcc
	v_lshl_or_b32 v0, s6, 9, v0
	v_cndmask_b32_e32 v7, v13, v14, vcc
	v_cndmask_b32_e64 v5, v5, v12, s[0:1]
	v_lshlrev_b64 v[0:1], 2, v[0:1]
	v_cndmask_b32_e64 v4, v7, v8, s[0:1]
	v_cndmask_b32_e64 v5, v5, v6, s[2:3]
	v_mov_b32_e32 v6, s5
	v_add_co_u32_e32 v0, vcc, s4, v0
	v_cndmask_b32_e64 v4, v4, v10, s[2:3]
	v_addc_co_u32_e32 v1, vcc, v6, v1, vcc
	global_store_dwordx4 v[0:1], v[2:5], off
	s_endpgm
	.section	.rodata,"a",@progbits
	.p2align	6, 0x0
	.amdhsa_kernel _Z20warp_exchange_kernelILj128ELj4ELj64ELN6hipcub21WarpExchangeAlgorithmE1E18StripedToBlockedOpiEvPT4_
		.amdhsa_group_segment_fixed_size 0
		.amdhsa_private_segment_fixed_size 0
		.amdhsa_kernarg_size 8
		.amdhsa_user_sgpr_count 6
		.amdhsa_user_sgpr_private_segment_buffer 1
		.amdhsa_user_sgpr_dispatch_ptr 0
		.amdhsa_user_sgpr_queue_ptr 0
		.amdhsa_user_sgpr_kernarg_segment_ptr 1
		.amdhsa_user_sgpr_dispatch_id 0
		.amdhsa_user_sgpr_flat_scratch_init 0
		.amdhsa_user_sgpr_kernarg_preload_length 0
		.amdhsa_user_sgpr_kernarg_preload_offset 0
		.amdhsa_user_sgpr_private_segment_size 0
		.amdhsa_uses_dynamic_stack 0
		.amdhsa_system_sgpr_private_segment_wavefront_offset 0
		.amdhsa_system_sgpr_workgroup_id_x 1
		.amdhsa_system_sgpr_workgroup_id_y 0
		.amdhsa_system_sgpr_workgroup_id_z 0
		.amdhsa_system_sgpr_workgroup_info 0
		.amdhsa_system_vgpr_workitem_id 0
		.amdhsa_next_free_vgpr 15
		.amdhsa_next_free_sgpr 7
		.amdhsa_accum_offset 16
		.amdhsa_reserve_vcc 1
		.amdhsa_reserve_flat_scratch 0
		.amdhsa_float_round_mode_32 0
		.amdhsa_float_round_mode_16_64 0
		.amdhsa_float_denorm_mode_32 3
		.amdhsa_float_denorm_mode_16_64 3
		.amdhsa_dx10_clamp 1
		.amdhsa_ieee_mode 1
		.amdhsa_fp16_overflow 0
		.amdhsa_tg_split 0
		.amdhsa_exception_fp_ieee_invalid_op 0
		.amdhsa_exception_fp_denorm_src 0
		.amdhsa_exception_fp_ieee_div_zero 0
		.amdhsa_exception_fp_ieee_overflow 0
		.amdhsa_exception_fp_ieee_underflow 0
		.amdhsa_exception_fp_ieee_inexact 0
		.amdhsa_exception_int_div_zero 0
	.end_amdhsa_kernel
	.section	.text._Z20warp_exchange_kernelILj128ELj4ELj64ELN6hipcub21WarpExchangeAlgorithmE1E18StripedToBlockedOpiEvPT4_,"axG",@progbits,_Z20warp_exchange_kernelILj128ELj4ELj64ELN6hipcub21WarpExchangeAlgorithmE1E18StripedToBlockedOpiEvPT4_,comdat
.Lfunc_end20:
	.size	_Z20warp_exchange_kernelILj128ELj4ELj64ELN6hipcub21WarpExchangeAlgorithmE1E18StripedToBlockedOpiEvPT4_, .Lfunc_end20-_Z20warp_exchange_kernelILj128ELj4ELj64ELN6hipcub21WarpExchangeAlgorithmE1E18StripedToBlockedOpiEvPT4_
                                        ; -- End function
	.section	.AMDGPU.csdata,"",@progbits
; Kernel info:
; codeLenInByte = 364
; NumSgprs: 11
; NumVgprs: 15
; NumAgprs: 0
; TotalNumVgprs: 15
; ScratchSize: 0
; MemoryBound: 0
; FloatMode: 240
; IeeeMode: 1
; LDSByteSize: 0 bytes/workgroup (compile time only)
; SGPRBlocks: 1
; VGPRBlocks: 1
; NumSGPRsForWavesPerEU: 11
; NumVGPRsForWavesPerEU: 15
; AccumOffset: 16
; Occupancy: 8
; WaveLimiterHint : 0
; COMPUTE_PGM_RSRC2:SCRATCH_EN: 0
; COMPUTE_PGM_RSRC2:USER_SGPR: 6
; COMPUTE_PGM_RSRC2:TRAP_HANDLER: 0
; COMPUTE_PGM_RSRC2:TGID_X_EN: 1
; COMPUTE_PGM_RSRC2:TGID_Y_EN: 0
; COMPUTE_PGM_RSRC2:TGID_Z_EN: 0
; COMPUTE_PGM_RSRC2:TIDIG_COMP_CNT: 0
; COMPUTE_PGM_RSRC3_GFX90A:ACCUM_OFFSET: 3
; COMPUTE_PGM_RSRC3_GFX90A:TG_SPLIT: 0
	.section	.text._Z20warp_exchange_kernelILj128ELj4ELj64ELN6hipcub21WarpExchangeAlgorithmE0E18BlockedToStripedOpiEvPT4_,"axG",@progbits,_Z20warp_exchange_kernelILj128ELj4ELj64ELN6hipcub21WarpExchangeAlgorithmE0E18BlockedToStripedOpiEvPT4_,comdat
	.protected	_Z20warp_exchange_kernelILj128ELj4ELj64ELN6hipcub21WarpExchangeAlgorithmE0E18BlockedToStripedOpiEvPT4_ ; -- Begin function _Z20warp_exchange_kernelILj128ELj4ELj64ELN6hipcub21WarpExchangeAlgorithmE0E18BlockedToStripedOpiEvPT4_
	.globl	_Z20warp_exchange_kernelILj128ELj4ELj64ELN6hipcub21WarpExchangeAlgorithmE0E18BlockedToStripedOpiEvPT4_
	.p2align	8
	.type	_Z20warp_exchange_kernelILj128ELj4ELj64ELN6hipcub21WarpExchangeAlgorithmE0E18BlockedToStripedOpiEvPT4_,@function
_Z20warp_exchange_kernelILj128ELj4ELj64ELN6hipcub21WarpExchangeAlgorithmE0E18BlockedToStripedOpiEvPT4_: ; @_Z20warp_exchange_kernelILj128ELj4ELj64ELN6hipcub21WarpExchangeAlgorithmE0E18BlockedToStripedOpiEvPT4_
; %bb.0:
	v_lshlrev_b32_e32 v1, 4, v0
	v_mbcnt_lo_u32_b32 v3, -1, 0
	s_load_dwordx2 s[0:1], s[4:5], 0x0
	v_and_b32_e32 v1, 0x400, v1
	v_mbcnt_hi_u32_b32 v6, -1, v3
	v_mov_b32_e32 v2, 0
	v_lshl_add_u32 v7, v6, 4, v1
	v_mov_b32_e32 v3, 1
	v_mov_b32_e32 v4, 2
	;; [unrolled: 1-line block ×3, first 2 shown]
	v_lshl_or_b32 v1, v6, 2, v1
	ds_write_b128 v7, v[2:5]
	; wave barrier
	ds_read2st64_b32 v[4:5], v1 offset1:1
	ds_read2st64_b32 v[6:7], v1 offset0:2 offset1:3
	v_lshlrev_b32_e32 v0, 2, v0
	v_lshl_or_b32 v0, s6, 9, v0
	v_mov_b32_e32 v1, v2
	v_lshlrev_b64 v[0:1], 2, v[0:1]
	s_waitcnt lgkmcnt(0)
	v_mov_b32_e32 v2, s1
	v_add_co_u32_e32 v0, vcc, s0, v0
	v_addc_co_u32_e32 v1, vcc, v2, v1, vcc
	global_store_dwordx4 v[0:1], v[4:7], off
	s_endpgm
	.section	.rodata,"a",@progbits
	.p2align	6, 0x0
	.amdhsa_kernel _Z20warp_exchange_kernelILj128ELj4ELj64ELN6hipcub21WarpExchangeAlgorithmE0E18BlockedToStripedOpiEvPT4_
		.amdhsa_group_segment_fixed_size 2048
		.amdhsa_private_segment_fixed_size 0
		.amdhsa_kernarg_size 8
		.amdhsa_user_sgpr_count 6
		.amdhsa_user_sgpr_private_segment_buffer 1
		.amdhsa_user_sgpr_dispatch_ptr 0
		.amdhsa_user_sgpr_queue_ptr 0
		.amdhsa_user_sgpr_kernarg_segment_ptr 1
		.amdhsa_user_sgpr_dispatch_id 0
		.amdhsa_user_sgpr_flat_scratch_init 0
		.amdhsa_user_sgpr_kernarg_preload_length 0
		.amdhsa_user_sgpr_kernarg_preload_offset 0
		.amdhsa_user_sgpr_private_segment_size 0
		.amdhsa_uses_dynamic_stack 0
		.amdhsa_system_sgpr_private_segment_wavefront_offset 0
		.amdhsa_system_sgpr_workgroup_id_x 1
		.amdhsa_system_sgpr_workgroup_id_y 0
		.amdhsa_system_sgpr_workgroup_id_z 0
		.amdhsa_system_sgpr_workgroup_info 0
		.amdhsa_system_vgpr_workitem_id 0
		.amdhsa_next_free_vgpr 8
		.amdhsa_next_free_sgpr 7
		.amdhsa_accum_offset 8
		.amdhsa_reserve_vcc 1
		.amdhsa_reserve_flat_scratch 0
		.amdhsa_float_round_mode_32 0
		.amdhsa_float_round_mode_16_64 0
		.amdhsa_float_denorm_mode_32 3
		.amdhsa_float_denorm_mode_16_64 3
		.amdhsa_dx10_clamp 1
		.amdhsa_ieee_mode 1
		.amdhsa_fp16_overflow 0
		.amdhsa_tg_split 0
		.amdhsa_exception_fp_ieee_invalid_op 0
		.amdhsa_exception_fp_denorm_src 0
		.amdhsa_exception_fp_ieee_div_zero 0
		.amdhsa_exception_fp_ieee_overflow 0
		.amdhsa_exception_fp_ieee_underflow 0
		.amdhsa_exception_fp_ieee_inexact 0
		.amdhsa_exception_int_div_zero 0
	.end_amdhsa_kernel
	.section	.text._Z20warp_exchange_kernelILj128ELj4ELj64ELN6hipcub21WarpExchangeAlgorithmE0E18BlockedToStripedOpiEvPT4_,"axG",@progbits,_Z20warp_exchange_kernelILj128ELj4ELj64ELN6hipcub21WarpExchangeAlgorithmE0E18BlockedToStripedOpiEvPT4_,comdat
.Lfunc_end21:
	.size	_Z20warp_exchange_kernelILj128ELj4ELj64ELN6hipcub21WarpExchangeAlgorithmE0E18BlockedToStripedOpiEvPT4_, .Lfunc_end21-_Z20warp_exchange_kernelILj128ELj4ELj64ELN6hipcub21WarpExchangeAlgorithmE0E18BlockedToStripedOpiEvPT4_
                                        ; -- End function
	.section	.AMDGPU.csdata,"",@progbits
; Kernel info:
; codeLenInByte = 144
; NumSgprs: 11
; NumVgprs: 8
; NumAgprs: 0
; TotalNumVgprs: 8
; ScratchSize: 0
; MemoryBound: 0
; FloatMode: 240
; IeeeMode: 1
; LDSByteSize: 2048 bytes/workgroup (compile time only)
; SGPRBlocks: 1
; VGPRBlocks: 0
; NumSGPRsForWavesPerEU: 11
; NumVGPRsForWavesPerEU: 8
; AccumOffset: 8
; Occupancy: 8
; WaveLimiterHint : 0
; COMPUTE_PGM_RSRC2:SCRATCH_EN: 0
; COMPUTE_PGM_RSRC2:USER_SGPR: 6
; COMPUTE_PGM_RSRC2:TRAP_HANDLER: 0
; COMPUTE_PGM_RSRC2:TGID_X_EN: 1
; COMPUTE_PGM_RSRC2:TGID_Y_EN: 0
; COMPUTE_PGM_RSRC2:TGID_Z_EN: 0
; COMPUTE_PGM_RSRC2:TIDIG_COMP_CNT: 0
; COMPUTE_PGM_RSRC3_GFX90A:ACCUM_OFFSET: 1
; COMPUTE_PGM_RSRC3_GFX90A:TG_SPLIT: 0
	.section	.text._Z20warp_exchange_kernelILj128ELj4ELj64ELN6hipcub21WarpExchangeAlgorithmE1E18BlockedToStripedOpiEvPT4_,"axG",@progbits,_Z20warp_exchange_kernelILj128ELj4ELj64ELN6hipcub21WarpExchangeAlgorithmE1E18BlockedToStripedOpiEvPT4_,comdat
	.protected	_Z20warp_exchange_kernelILj128ELj4ELj64ELN6hipcub21WarpExchangeAlgorithmE1E18BlockedToStripedOpiEvPT4_ ; -- Begin function _Z20warp_exchange_kernelILj128ELj4ELj64ELN6hipcub21WarpExchangeAlgorithmE1E18BlockedToStripedOpiEvPT4_
	.globl	_Z20warp_exchange_kernelILj128ELj4ELj64ELN6hipcub21WarpExchangeAlgorithmE1E18BlockedToStripedOpiEvPT4_
	.p2align	8
	.type	_Z20warp_exchange_kernelILj128ELj4ELj64ELN6hipcub21WarpExchangeAlgorithmE1E18BlockedToStripedOpiEvPT4_,@function
_Z20warp_exchange_kernelILj128ELj4ELj64ELN6hipcub21WarpExchangeAlgorithmE1E18BlockedToStripedOpiEvPT4_: ; @_Z20warp_exchange_kernelILj128ELj4ELj64ELN6hipcub21WarpExchangeAlgorithmE1E18BlockedToStripedOpiEvPT4_
; %bb.0:
	v_mbcnt_lo_u32_b32 v2, -1, 0
	v_mbcnt_hi_u32_b32 v2, -1, v2
	v_lshrrev_b32_e32 v5, 2, v2
	v_and_b32_e32 v6, 64, v2
	v_or_b32_e32 v3, v5, v6
	v_mov_b32_e32 v1, 0
	v_mov_b32_e32 v7, 1
	v_lshlrev_b32_e32 v8, 2, v3
	v_mov_b32_e32 v4, 2
	ds_bpermute_b32 v3, v8, v1
	ds_bpermute_b32 v9, v8, v7
	;; [unrolled: 1-line block ×3, first 2 shown]
	v_and_b32_e32 v2, 3, v2
	v_cmp_eq_u32_e32 vcc, 1, v2
	v_mov_b32_e32 v10, 3
	s_waitcnt lgkmcnt(1)
	v_cndmask_b32_e32 v3, v3, v9, vcc
	v_cmp_eq_u32_e64 s[0:1], 2, v2
	s_waitcnt lgkmcnt(0)
	v_cndmask_b32_e64 v3, v3, v11, s[0:1]
	ds_bpermute_b32 v9, v8, v10
	ds_bpermute_b32 v11, v8, v1 offset:64
	ds_bpermute_b32 v12, v8, v7 offset:64
	v_add_u32_e32 v5, 48, v5
	v_and_or_b32 v5, v5, 63, v6
	v_lshlrev_b32_e32 v5, 2, v5
	ds_bpermute_b32 v16, v8, v7 offset:128
	v_cmp_eq_u32_e64 s[2:3], 3, v2
	ds_bpermute_b32 v6, v5, v1
	ds_bpermute_b32 v7, v5, v7
	ds_bpermute_b32 v15, v8, v1 offset:128
	s_waitcnt lgkmcnt(6)
	v_cndmask_b32_e64 v2, v3, v9, s[2:3]
	s_waitcnt lgkmcnt(4)
	v_cndmask_b32_e32 v3, v11, v12, vcc
	ds_bpermute_b32 v12, v5, v4
	s_load_dwordx2 s[4:5], s[4:5], 0x0
	ds_bpermute_b32 v13, v8, v4 offset:64
	ds_bpermute_b32 v11, v8, v4 offset:128
	ds_bpermute_b32 v5, v5, v10
	ds_bpermute_b32 v14, v8, v10 offset:64
	ds_bpermute_b32 v8, v8, v10 offset:128
	v_lshlrev_b32_e32 v0, 2, v0
	s_waitcnt lgkmcnt(0)
	v_cndmask_b32_e32 v6, v6, v7, vcc
	v_lshl_or_b32 v0, s6, 9, v0
	v_cndmask_b32_e32 v9, v15, v16, vcc
	v_cndmask_b32_e64 v6, v6, v12, s[0:1]
	v_lshlrev_b64 v[0:1], 2, v[0:1]
	v_cndmask_b32_e64 v3, v3, v13, s[0:1]
	v_cndmask_b32_e64 v4, v9, v11, s[0:1]
	;; [unrolled: 1-line block ×3, first 2 shown]
	v_mov_b32_e32 v6, s5
	v_add_co_u32_e32 v0, vcc, s4, v0
	v_cndmask_b32_e64 v3, v3, v14, s[2:3]
	v_cndmask_b32_e64 v4, v4, v8, s[2:3]
	v_addc_co_u32_e32 v1, vcc, v6, v1, vcc
	global_store_dwordx4 v[0:1], v[2:5], off
	s_endpgm
	.section	.rodata,"a",@progbits
	.p2align	6, 0x0
	.amdhsa_kernel _Z20warp_exchange_kernelILj128ELj4ELj64ELN6hipcub21WarpExchangeAlgorithmE1E18BlockedToStripedOpiEvPT4_
		.amdhsa_group_segment_fixed_size 0
		.amdhsa_private_segment_fixed_size 0
		.amdhsa_kernarg_size 8
		.amdhsa_user_sgpr_count 6
		.amdhsa_user_sgpr_private_segment_buffer 1
		.amdhsa_user_sgpr_dispatch_ptr 0
		.amdhsa_user_sgpr_queue_ptr 0
		.amdhsa_user_sgpr_kernarg_segment_ptr 1
		.amdhsa_user_sgpr_dispatch_id 0
		.amdhsa_user_sgpr_flat_scratch_init 0
		.amdhsa_user_sgpr_kernarg_preload_length 0
		.amdhsa_user_sgpr_kernarg_preload_offset 0
		.amdhsa_user_sgpr_private_segment_size 0
		.amdhsa_uses_dynamic_stack 0
		.amdhsa_system_sgpr_private_segment_wavefront_offset 0
		.amdhsa_system_sgpr_workgroup_id_x 1
		.amdhsa_system_sgpr_workgroup_id_y 0
		.amdhsa_system_sgpr_workgroup_id_z 0
		.amdhsa_system_sgpr_workgroup_info 0
		.amdhsa_system_vgpr_workitem_id 0
		.amdhsa_next_free_vgpr 17
		.amdhsa_next_free_sgpr 7
		.amdhsa_accum_offset 20
		.amdhsa_reserve_vcc 1
		.amdhsa_reserve_flat_scratch 0
		.amdhsa_float_round_mode_32 0
		.amdhsa_float_round_mode_16_64 0
		.amdhsa_float_denorm_mode_32 3
		.amdhsa_float_denorm_mode_16_64 3
		.amdhsa_dx10_clamp 1
		.amdhsa_ieee_mode 1
		.amdhsa_fp16_overflow 0
		.amdhsa_tg_split 0
		.amdhsa_exception_fp_ieee_invalid_op 0
		.amdhsa_exception_fp_denorm_src 0
		.amdhsa_exception_fp_ieee_div_zero 0
		.amdhsa_exception_fp_ieee_overflow 0
		.amdhsa_exception_fp_ieee_underflow 0
		.amdhsa_exception_fp_ieee_inexact 0
		.amdhsa_exception_int_div_zero 0
	.end_amdhsa_kernel
	.section	.text._Z20warp_exchange_kernelILj128ELj4ELj64ELN6hipcub21WarpExchangeAlgorithmE1E18BlockedToStripedOpiEvPT4_,"axG",@progbits,_Z20warp_exchange_kernelILj128ELj4ELj64ELN6hipcub21WarpExchangeAlgorithmE1E18BlockedToStripedOpiEvPT4_,comdat
.Lfunc_end22:
	.size	_Z20warp_exchange_kernelILj128ELj4ELj64ELN6hipcub21WarpExchangeAlgorithmE1E18BlockedToStripedOpiEvPT4_, .Lfunc_end22-_Z20warp_exchange_kernelILj128ELj4ELj64ELN6hipcub21WarpExchangeAlgorithmE1E18BlockedToStripedOpiEvPT4_
                                        ; -- End function
	.section	.AMDGPU.csdata,"",@progbits
; Kernel info:
; codeLenInByte = 368
; NumSgprs: 11
; NumVgprs: 17
; NumAgprs: 0
; TotalNumVgprs: 17
; ScratchSize: 0
; MemoryBound: 0
; FloatMode: 240
; IeeeMode: 1
; LDSByteSize: 0 bytes/workgroup (compile time only)
; SGPRBlocks: 1
; VGPRBlocks: 2
; NumSGPRsForWavesPerEU: 11
; NumVGPRsForWavesPerEU: 17
; AccumOffset: 20
; Occupancy: 8
; WaveLimiterHint : 0
; COMPUTE_PGM_RSRC2:SCRATCH_EN: 0
; COMPUTE_PGM_RSRC2:USER_SGPR: 6
; COMPUTE_PGM_RSRC2:TRAP_HANDLER: 0
; COMPUTE_PGM_RSRC2:TGID_X_EN: 1
; COMPUTE_PGM_RSRC2:TGID_Y_EN: 0
; COMPUTE_PGM_RSRC2:TGID_Z_EN: 0
; COMPUTE_PGM_RSRC2:TIDIG_COMP_CNT: 0
; COMPUTE_PGM_RSRC3_GFX90A:ACCUM_OFFSET: 4
; COMPUTE_PGM_RSRC3_GFX90A:TG_SPLIT: 0
	.section	.text._Z39warp_exchange_scatter_to_striped_kernelIiLj128ELj4ELj64EiEvPT3_,"axG",@progbits,_Z39warp_exchange_scatter_to_striped_kernelIiLj128ELj4ELj64EiEvPT3_,comdat
	.protected	_Z39warp_exchange_scatter_to_striped_kernelIiLj128ELj4ELj64EiEvPT3_ ; -- Begin function _Z39warp_exchange_scatter_to_striped_kernelIiLj128ELj4ELj64EiEvPT3_
	.globl	_Z39warp_exchange_scatter_to_striped_kernelIiLj128ELj4ELj64EiEvPT3_
	.p2align	8
	.type	_Z39warp_exchange_scatter_to_striped_kernelIiLj128ELj4ELj64EiEvPT3_,@function
_Z39warp_exchange_scatter_to_striped_kernelIiLj128ELj4ELj64EiEvPT3_: ; @_Z39warp_exchange_scatter_to_striped_kernelIiLj128ELj4ELj64EiEvPT3_
; %bb.0:
	v_lshrrev_b32_e32 v2, 6, v0
	v_lshlrev_b32_e32 v5, 10, v2
	v_lshlrev_b32_e32 v2, 4, v2
	v_xor_b32_e32 v3, 0xfc, v2
	v_mov_b32_e32 v1, 0
	v_or_b32_e32 v3, v5, v3
	s_load_dwordx2 s[0:1], s[4:5], 0x0
	v_mbcnt_lo_u32_b32 v6, -1, 0
	ds_write_b32 v3, v1
	v_sub_u32_e32 v7, v5, v2
	v_mov_b32_e32 v2, 3
	v_mov_b32_e32 v3, 2
	v_mov_b32_e32 v4, 1
	ds_write_b96 v7, v[2:4] offset:240
	v_mbcnt_hi_u32_b32 v2, -1, v6
	v_lshl_or_b32 v4, v2, 2, v5
	; wave barrier
	ds_read2st64_b32 v[2:3], v4 offset1:1
	ds_read2st64_b32 v[4:5], v4 offset0:2 offset1:3
	v_lshl_or_b32 v0, s6, 9, v0
	v_lshlrev_b64 v[6:7], 2, v[0:1]
	s_waitcnt lgkmcnt(0)
	v_mov_b32_e32 v8, s1
	v_add_co_u32_e32 v6, vcc, s0, v6
	v_addc_co_u32_e32 v7, vcc, v8, v7, vcc
	global_store_dword v[6:7], v2, off
	v_or_b32_e32 v6, 0x80, v0
	v_mov_b32_e32 v7, v1
	v_lshlrev_b64 v[6:7], 2, v[6:7]
	v_add_co_u32_e32 v6, vcc, s0, v6
	v_addc_co_u32_e32 v7, vcc, v8, v7, vcc
	global_store_dword v[6:7], v3, off
	v_or_b32_e32 v2, 0x100, v0
	v_mov_b32_e32 v3, v1
	v_lshlrev_b64 v[2:3], 2, v[2:3]
	v_add_co_u32_e32 v2, vcc, s0, v2
	v_or_b32_e32 v0, 0x180, v0
	v_addc_co_u32_e32 v3, vcc, v8, v3, vcc
	v_lshlrev_b64 v[0:1], 2, v[0:1]
	v_add_co_u32_e32 v0, vcc, s0, v0
	v_addc_co_u32_e32 v1, vcc, v8, v1, vcc
	global_store_dword v[2:3], v4, off
	global_store_dword v[0:1], v5, off
	s_endpgm
	.section	.rodata,"a",@progbits
	.p2align	6, 0x0
	.amdhsa_kernel _Z39warp_exchange_scatter_to_striped_kernelIiLj128ELj4ELj64EiEvPT3_
		.amdhsa_group_segment_fixed_size 2048
		.amdhsa_private_segment_fixed_size 0
		.amdhsa_kernarg_size 8
		.amdhsa_user_sgpr_count 6
		.amdhsa_user_sgpr_private_segment_buffer 1
		.amdhsa_user_sgpr_dispatch_ptr 0
		.amdhsa_user_sgpr_queue_ptr 0
		.amdhsa_user_sgpr_kernarg_segment_ptr 1
		.amdhsa_user_sgpr_dispatch_id 0
		.amdhsa_user_sgpr_flat_scratch_init 0
		.amdhsa_user_sgpr_kernarg_preload_length 0
		.amdhsa_user_sgpr_kernarg_preload_offset 0
		.amdhsa_user_sgpr_private_segment_size 0
		.amdhsa_uses_dynamic_stack 0
		.amdhsa_system_sgpr_private_segment_wavefront_offset 0
		.amdhsa_system_sgpr_workgroup_id_x 1
		.amdhsa_system_sgpr_workgroup_id_y 0
		.amdhsa_system_sgpr_workgroup_id_z 0
		.amdhsa_system_sgpr_workgroup_info 0
		.amdhsa_system_vgpr_workitem_id 0
		.amdhsa_next_free_vgpr 9
		.amdhsa_next_free_sgpr 7
		.amdhsa_accum_offset 12
		.amdhsa_reserve_vcc 1
		.amdhsa_reserve_flat_scratch 0
		.amdhsa_float_round_mode_32 0
		.amdhsa_float_round_mode_16_64 0
		.amdhsa_float_denorm_mode_32 3
		.amdhsa_float_denorm_mode_16_64 3
		.amdhsa_dx10_clamp 1
		.amdhsa_ieee_mode 1
		.amdhsa_fp16_overflow 0
		.amdhsa_tg_split 0
		.amdhsa_exception_fp_ieee_invalid_op 0
		.amdhsa_exception_fp_denorm_src 0
		.amdhsa_exception_fp_ieee_div_zero 0
		.amdhsa_exception_fp_ieee_overflow 0
		.amdhsa_exception_fp_ieee_underflow 0
		.amdhsa_exception_fp_ieee_inexact 0
		.amdhsa_exception_int_div_zero 0
	.end_amdhsa_kernel
	.section	.text._Z39warp_exchange_scatter_to_striped_kernelIiLj128ELj4ELj64EiEvPT3_,"axG",@progbits,_Z39warp_exchange_scatter_to_striped_kernelIiLj128ELj4ELj64EiEvPT3_,comdat
.Lfunc_end23:
	.size	_Z39warp_exchange_scatter_to_striped_kernelIiLj128ELj4ELj64EiEvPT3_, .Lfunc_end23-_Z39warp_exchange_scatter_to_striped_kernelIiLj128ELj4ELj64EiEvPT3_
                                        ; -- End function
	.section	.AMDGPU.csdata,"",@progbits
; Kernel info:
; codeLenInByte = 256
; NumSgprs: 11
; NumVgprs: 9
; NumAgprs: 0
; TotalNumVgprs: 9
; ScratchSize: 0
; MemoryBound: 0
; FloatMode: 240
; IeeeMode: 1
; LDSByteSize: 2048 bytes/workgroup (compile time only)
; SGPRBlocks: 1
; VGPRBlocks: 1
; NumSGPRsForWavesPerEU: 11
; NumVGPRsForWavesPerEU: 9
; AccumOffset: 12
; Occupancy: 8
; WaveLimiterHint : 0
; COMPUTE_PGM_RSRC2:SCRATCH_EN: 0
; COMPUTE_PGM_RSRC2:USER_SGPR: 6
; COMPUTE_PGM_RSRC2:TRAP_HANDLER: 0
; COMPUTE_PGM_RSRC2:TGID_X_EN: 1
; COMPUTE_PGM_RSRC2:TGID_Y_EN: 0
; COMPUTE_PGM_RSRC2:TGID_Z_EN: 0
; COMPUTE_PGM_RSRC2:TIDIG_COMP_CNT: 0
; COMPUTE_PGM_RSRC3_GFX90A:ACCUM_OFFSET: 2
; COMPUTE_PGM_RSRC3_GFX90A:TG_SPLIT: 0
	.section	.text._Z20warp_exchange_kernelILj256ELj4ELj64ELN6hipcub21WarpExchangeAlgorithmE0E18StripedToBlockedOpiEvPT4_,"axG",@progbits,_Z20warp_exchange_kernelILj256ELj4ELj64ELN6hipcub21WarpExchangeAlgorithmE0E18StripedToBlockedOpiEvPT4_,comdat
	.protected	_Z20warp_exchange_kernelILj256ELj4ELj64ELN6hipcub21WarpExchangeAlgorithmE0E18StripedToBlockedOpiEvPT4_ ; -- Begin function _Z20warp_exchange_kernelILj256ELj4ELj64ELN6hipcub21WarpExchangeAlgorithmE0E18StripedToBlockedOpiEvPT4_
	.globl	_Z20warp_exchange_kernelILj256ELj4ELj64ELN6hipcub21WarpExchangeAlgorithmE0E18StripedToBlockedOpiEvPT4_
	.p2align	8
	.type	_Z20warp_exchange_kernelILj256ELj4ELj64ELN6hipcub21WarpExchangeAlgorithmE0E18StripedToBlockedOpiEvPT4_,@function
_Z20warp_exchange_kernelILj256ELj4ELj64ELN6hipcub21WarpExchangeAlgorithmE0E18StripedToBlockedOpiEvPT4_: ; @_Z20warp_exchange_kernelILj256ELj4ELj64ELN6hipcub21WarpExchangeAlgorithmE0E18StripedToBlockedOpiEvPT4_
; %bb.0:
	v_lshlrev_b32_e32 v1, 4, v0
	v_mbcnt_lo_u32_b32 v3, -1, 0
	v_and_b32_e32 v2, 0xc00, v1
	v_mbcnt_hi_u32_b32 v3, -1, v3
	s_load_dwordx2 s[0:1], s[4:5], 0x0
	v_mov_b32_e32 v1, 0
	v_lshl_or_b32 v5, v3, 2, v2
	v_mov_b32_e32 v6, 1
	v_lshlrev_b32_e32 v0, 2, v0
	v_mov_b32_e32 v4, 2
	ds_write2st64_b32 v5, v1, v6 offset1:1
	v_mov_b32_e32 v6, 3
	v_lshl_add_u32 v2, v3, 4, v2
	v_lshl_or_b32 v0, s6, 10, v0
	ds_write2st64_b32 v5, v4, v6 offset0:2 offset1:3
	; wave barrier
	v_lshlrev_b64 v[4:5], 2, v[0:1]
	ds_read_b128 v[0:3], v2
	s_waitcnt lgkmcnt(0)
	v_mov_b32_e32 v6, s1
	v_add_co_u32_e32 v4, vcc, s0, v4
	v_addc_co_u32_e32 v5, vcc, v6, v5, vcc
	global_store_dwordx4 v[4:5], v[0:3], off
	s_endpgm
	.section	.rodata,"a",@progbits
	.p2align	6, 0x0
	.amdhsa_kernel _Z20warp_exchange_kernelILj256ELj4ELj64ELN6hipcub21WarpExchangeAlgorithmE0E18StripedToBlockedOpiEvPT4_
		.amdhsa_group_segment_fixed_size 4096
		.amdhsa_private_segment_fixed_size 0
		.amdhsa_kernarg_size 8
		.amdhsa_user_sgpr_count 6
		.amdhsa_user_sgpr_private_segment_buffer 1
		.amdhsa_user_sgpr_dispatch_ptr 0
		.amdhsa_user_sgpr_queue_ptr 0
		.amdhsa_user_sgpr_kernarg_segment_ptr 1
		.amdhsa_user_sgpr_dispatch_id 0
		.amdhsa_user_sgpr_flat_scratch_init 0
		.amdhsa_user_sgpr_kernarg_preload_length 0
		.amdhsa_user_sgpr_kernarg_preload_offset 0
		.amdhsa_user_sgpr_private_segment_size 0
		.amdhsa_uses_dynamic_stack 0
		.amdhsa_system_sgpr_private_segment_wavefront_offset 0
		.amdhsa_system_sgpr_workgroup_id_x 1
		.amdhsa_system_sgpr_workgroup_id_y 0
		.amdhsa_system_sgpr_workgroup_id_z 0
		.amdhsa_system_sgpr_workgroup_info 0
		.amdhsa_system_vgpr_workitem_id 0
		.amdhsa_next_free_vgpr 7
		.amdhsa_next_free_sgpr 7
		.amdhsa_accum_offset 8
		.amdhsa_reserve_vcc 1
		.amdhsa_reserve_flat_scratch 0
		.amdhsa_float_round_mode_32 0
		.amdhsa_float_round_mode_16_64 0
		.amdhsa_float_denorm_mode_32 3
		.amdhsa_float_denorm_mode_16_64 3
		.amdhsa_dx10_clamp 1
		.amdhsa_ieee_mode 1
		.amdhsa_fp16_overflow 0
		.amdhsa_tg_split 0
		.amdhsa_exception_fp_ieee_invalid_op 0
		.amdhsa_exception_fp_denorm_src 0
		.amdhsa_exception_fp_ieee_div_zero 0
		.amdhsa_exception_fp_ieee_overflow 0
		.amdhsa_exception_fp_ieee_underflow 0
		.amdhsa_exception_fp_ieee_inexact 0
		.amdhsa_exception_int_div_zero 0
	.end_amdhsa_kernel
	.section	.text._Z20warp_exchange_kernelILj256ELj4ELj64ELN6hipcub21WarpExchangeAlgorithmE0E18StripedToBlockedOpiEvPT4_,"axG",@progbits,_Z20warp_exchange_kernelILj256ELj4ELj64ELN6hipcub21WarpExchangeAlgorithmE0E18StripedToBlockedOpiEvPT4_,comdat
.Lfunc_end24:
	.size	_Z20warp_exchange_kernelILj256ELj4ELj64ELN6hipcub21WarpExchangeAlgorithmE0E18StripedToBlockedOpiEvPT4_, .Lfunc_end24-_Z20warp_exchange_kernelILj256ELj4ELj64ELN6hipcub21WarpExchangeAlgorithmE0E18StripedToBlockedOpiEvPT4_
                                        ; -- End function
	.section	.AMDGPU.csdata,"",@progbits
; Kernel info:
; codeLenInByte = 140
; NumSgprs: 11
; NumVgprs: 7
; NumAgprs: 0
; TotalNumVgprs: 7
; ScratchSize: 0
; MemoryBound: 0
; FloatMode: 240
; IeeeMode: 1
; LDSByteSize: 4096 bytes/workgroup (compile time only)
; SGPRBlocks: 1
; VGPRBlocks: 0
; NumSGPRsForWavesPerEU: 11
; NumVGPRsForWavesPerEU: 7
; AccumOffset: 8
; Occupancy: 8
; WaveLimiterHint : 0
; COMPUTE_PGM_RSRC2:SCRATCH_EN: 0
; COMPUTE_PGM_RSRC2:USER_SGPR: 6
; COMPUTE_PGM_RSRC2:TRAP_HANDLER: 0
; COMPUTE_PGM_RSRC2:TGID_X_EN: 1
; COMPUTE_PGM_RSRC2:TGID_Y_EN: 0
; COMPUTE_PGM_RSRC2:TGID_Z_EN: 0
; COMPUTE_PGM_RSRC2:TIDIG_COMP_CNT: 0
; COMPUTE_PGM_RSRC3_GFX90A:ACCUM_OFFSET: 1
; COMPUTE_PGM_RSRC3_GFX90A:TG_SPLIT: 0
	.section	.text._Z20warp_exchange_kernelILj256ELj4ELj64ELN6hipcub21WarpExchangeAlgorithmE1E18StripedToBlockedOpiEvPT4_,"axG",@progbits,_Z20warp_exchange_kernelILj256ELj4ELj64ELN6hipcub21WarpExchangeAlgorithmE1E18StripedToBlockedOpiEvPT4_,comdat
	.protected	_Z20warp_exchange_kernelILj256ELj4ELj64ELN6hipcub21WarpExchangeAlgorithmE1E18StripedToBlockedOpiEvPT4_ ; -- Begin function _Z20warp_exchange_kernelILj256ELj4ELj64ELN6hipcub21WarpExchangeAlgorithmE1E18StripedToBlockedOpiEvPT4_
	.globl	_Z20warp_exchange_kernelILj256ELj4ELj64ELN6hipcub21WarpExchangeAlgorithmE1E18StripedToBlockedOpiEvPT4_
	.p2align	8
	.type	_Z20warp_exchange_kernelILj256ELj4ELj64ELN6hipcub21WarpExchangeAlgorithmE1E18StripedToBlockedOpiEvPT4_,@function
_Z20warp_exchange_kernelILj256ELj4ELj64ELN6hipcub21WarpExchangeAlgorithmE1E18StripedToBlockedOpiEvPT4_: ; @_Z20warp_exchange_kernelILj256ELj4ELj64ELN6hipcub21WarpExchangeAlgorithmE1E18StripedToBlockedOpiEvPT4_
; %bb.0:
	v_mbcnt_lo_u32_b32 v2, -1, 0
	v_mbcnt_hi_u32_b32 v2, -1, v2
	v_lshlrev_b32_e32 v3, 2, v2
	v_and_b32_e32 v5, 64, v2
	v_and_or_b32 v3, v3, 60, v5
	v_mov_b32_e32 v1, 0
	v_mov_b32_e32 v5, 1
	v_lshlrev_b32_e32 v6, 2, v3
	v_mov_b32_e32 v4, 2
	ds_bpermute_b32 v3, v6, v1
	ds_bpermute_b32 v7, v6, v5
	;; [unrolled: 1-line block ×3, first 2 shown]
	v_lshrrev_b32_e32 v2, 4, v2
	v_cmp_eq_u32_e32 vcc, 1, v2
	v_mov_b32_e32 v9, 3
	s_waitcnt lgkmcnt(1)
	v_cndmask_b32_e32 v3, v3, v7, vcc
	v_cmp_eq_u32_e64 s[0:1], 2, v2
	s_waitcnt lgkmcnt(0)
	v_cndmask_b32_e64 v3, v3, v8, s[0:1]
	ds_bpermute_b32 v7, v6, v9
	ds_bpermute_b32 v8, v6, v1 offset:4
	ds_bpermute_b32 v10, v6, v5 offset:4
	ds_bpermute_b32 v11, v6, v4 offset:4
	ds_bpermute_b32 v12, v6, v9 offset:4
	v_cmp_eq_u32_e64 s[2:3], 3, v2
	s_waitcnt lgkmcnt(4)
	v_cndmask_b32_e64 v2, v3, v7, s[2:3]
	s_waitcnt lgkmcnt(2)
	v_cndmask_b32_e32 v3, v8, v10, vcc
	ds_bpermute_b32 v14, v6, v5 offset:8
	s_waitcnt lgkmcnt(2)
	v_cndmask_b32_e64 v3, v3, v11, s[0:1]
	ds_bpermute_b32 v11, v6, v1 offset:12
	ds_bpermute_b32 v5, v6, v5 offset:12
	;; [unrolled: 1-line block ×3, first 2 shown]
	s_waitcnt lgkmcnt(4)
	v_cndmask_b32_e64 v3, v3, v12, s[2:3]
	ds_bpermute_b32 v12, v6, v4 offset:12
	s_load_dwordx2 s[4:5], s[4:5], 0x0
	ds_bpermute_b32 v8, v6, v4 offset:8
	ds_bpermute_b32 v10, v6, v9 offset:8
	;; [unrolled: 1-line block ×3, first 2 shown]
	v_lshlrev_b32_e32 v0, 2, v0
	s_waitcnt lgkmcnt(0)
	v_cndmask_b32_e32 v5, v11, v5, vcc
	v_lshl_or_b32 v0, s6, 10, v0
	v_cndmask_b32_e32 v7, v13, v14, vcc
	v_cndmask_b32_e64 v5, v5, v12, s[0:1]
	v_lshlrev_b64 v[0:1], 2, v[0:1]
	v_cndmask_b32_e64 v4, v7, v8, s[0:1]
	v_cndmask_b32_e64 v5, v5, v6, s[2:3]
	v_mov_b32_e32 v6, s5
	v_add_co_u32_e32 v0, vcc, s4, v0
	v_cndmask_b32_e64 v4, v4, v10, s[2:3]
	v_addc_co_u32_e32 v1, vcc, v6, v1, vcc
	global_store_dwordx4 v[0:1], v[2:5], off
	s_endpgm
	.section	.rodata,"a",@progbits
	.p2align	6, 0x0
	.amdhsa_kernel _Z20warp_exchange_kernelILj256ELj4ELj64ELN6hipcub21WarpExchangeAlgorithmE1E18StripedToBlockedOpiEvPT4_
		.amdhsa_group_segment_fixed_size 0
		.amdhsa_private_segment_fixed_size 0
		.amdhsa_kernarg_size 8
		.amdhsa_user_sgpr_count 6
		.amdhsa_user_sgpr_private_segment_buffer 1
		.amdhsa_user_sgpr_dispatch_ptr 0
		.amdhsa_user_sgpr_queue_ptr 0
		.amdhsa_user_sgpr_kernarg_segment_ptr 1
		.amdhsa_user_sgpr_dispatch_id 0
		.amdhsa_user_sgpr_flat_scratch_init 0
		.amdhsa_user_sgpr_kernarg_preload_length 0
		.amdhsa_user_sgpr_kernarg_preload_offset 0
		.amdhsa_user_sgpr_private_segment_size 0
		.amdhsa_uses_dynamic_stack 0
		.amdhsa_system_sgpr_private_segment_wavefront_offset 0
		.amdhsa_system_sgpr_workgroup_id_x 1
		.amdhsa_system_sgpr_workgroup_id_y 0
		.amdhsa_system_sgpr_workgroup_id_z 0
		.amdhsa_system_sgpr_workgroup_info 0
		.amdhsa_system_vgpr_workitem_id 0
		.amdhsa_next_free_vgpr 15
		.amdhsa_next_free_sgpr 7
		.amdhsa_accum_offset 16
		.amdhsa_reserve_vcc 1
		.amdhsa_reserve_flat_scratch 0
		.amdhsa_float_round_mode_32 0
		.amdhsa_float_round_mode_16_64 0
		.amdhsa_float_denorm_mode_32 3
		.amdhsa_float_denorm_mode_16_64 3
		.amdhsa_dx10_clamp 1
		.amdhsa_ieee_mode 1
		.amdhsa_fp16_overflow 0
		.amdhsa_tg_split 0
		.amdhsa_exception_fp_ieee_invalid_op 0
		.amdhsa_exception_fp_denorm_src 0
		.amdhsa_exception_fp_ieee_div_zero 0
		.amdhsa_exception_fp_ieee_overflow 0
		.amdhsa_exception_fp_ieee_underflow 0
		.amdhsa_exception_fp_ieee_inexact 0
		.amdhsa_exception_int_div_zero 0
	.end_amdhsa_kernel
	.section	.text._Z20warp_exchange_kernelILj256ELj4ELj64ELN6hipcub21WarpExchangeAlgorithmE1E18StripedToBlockedOpiEvPT4_,"axG",@progbits,_Z20warp_exchange_kernelILj256ELj4ELj64ELN6hipcub21WarpExchangeAlgorithmE1E18StripedToBlockedOpiEvPT4_,comdat
.Lfunc_end25:
	.size	_Z20warp_exchange_kernelILj256ELj4ELj64ELN6hipcub21WarpExchangeAlgorithmE1E18StripedToBlockedOpiEvPT4_, .Lfunc_end25-_Z20warp_exchange_kernelILj256ELj4ELj64ELN6hipcub21WarpExchangeAlgorithmE1E18StripedToBlockedOpiEvPT4_
                                        ; -- End function
	.section	.AMDGPU.csdata,"",@progbits
; Kernel info:
; codeLenInByte = 364
; NumSgprs: 11
; NumVgprs: 15
; NumAgprs: 0
; TotalNumVgprs: 15
; ScratchSize: 0
; MemoryBound: 0
; FloatMode: 240
; IeeeMode: 1
; LDSByteSize: 0 bytes/workgroup (compile time only)
; SGPRBlocks: 1
; VGPRBlocks: 1
; NumSGPRsForWavesPerEU: 11
; NumVGPRsForWavesPerEU: 15
; AccumOffset: 16
; Occupancy: 8
; WaveLimiterHint : 0
; COMPUTE_PGM_RSRC2:SCRATCH_EN: 0
; COMPUTE_PGM_RSRC2:USER_SGPR: 6
; COMPUTE_PGM_RSRC2:TRAP_HANDLER: 0
; COMPUTE_PGM_RSRC2:TGID_X_EN: 1
; COMPUTE_PGM_RSRC2:TGID_Y_EN: 0
; COMPUTE_PGM_RSRC2:TGID_Z_EN: 0
; COMPUTE_PGM_RSRC2:TIDIG_COMP_CNT: 0
; COMPUTE_PGM_RSRC3_GFX90A:ACCUM_OFFSET: 3
; COMPUTE_PGM_RSRC3_GFX90A:TG_SPLIT: 0
	.section	.text._Z20warp_exchange_kernelILj256ELj4ELj64ELN6hipcub21WarpExchangeAlgorithmE0E18BlockedToStripedOpiEvPT4_,"axG",@progbits,_Z20warp_exchange_kernelILj256ELj4ELj64ELN6hipcub21WarpExchangeAlgorithmE0E18BlockedToStripedOpiEvPT4_,comdat
	.protected	_Z20warp_exchange_kernelILj256ELj4ELj64ELN6hipcub21WarpExchangeAlgorithmE0E18BlockedToStripedOpiEvPT4_ ; -- Begin function _Z20warp_exchange_kernelILj256ELj4ELj64ELN6hipcub21WarpExchangeAlgorithmE0E18BlockedToStripedOpiEvPT4_
	.globl	_Z20warp_exchange_kernelILj256ELj4ELj64ELN6hipcub21WarpExchangeAlgorithmE0E18BlockedToStripedOpiEvPT4_
	.p2align	8
	.type	_Z20warp_exchange_kernelILj256ELj4ELj64ELN6hipcub21WarpExchangeAlgorithmE0E18BlockedToStripedOpiEvPT4_,@function
_Z20warp_exchange_kernelILj256ELj4ELj64ELN6hipcub21WarpExchangeAlgorithmE0E18BlockedToStripedOpiEvPT4_: ; @_Z20warp_exchange_kernelILj256ELj4ELj64ELN6hipcub21WarpExchangeAlgorithmE0E18BlockedToStripedOpiEvPT4_
; %bb.0:
	v_lshlrev_b32_e32 v1, 4, v0
	v_mbcnt_lo_u32_b32 v3, -1, 0
	s_load_dwordx2 s[0:1], s[4:5], 0x0
	v_and_b32_e32 v1, 0xc00, v1
	v_mbcnt_hi_u32_b32 v6, -1, v3
	v_mov_b32_e32 v2, 0
	v_lshl_add_u32 v7, v6, 4, v1
	v_mov_b32_e32 v3, 1
	v_mov_b32_e32 v4, 2
	;; [unrolled: 1-line block ×3, first 2 shown]
	v_lshl_or_b32 v1, v6, 2, v1
	ds_write_b128 v7, v[2:5]
	; wave barrier
	ds_read2st64_b32 v[4:5], v1 offset1:1
	ds_read2st64_b32 v[6:7], v1 offset0:2 offset1:3
	v_lshlrev_b32_e32 v0, 2, v0
	v_lshl_or_b32 v0, s6, 10, v0
	v_mov_b32_e32 v1, v2
	v_lshlrev_b64 v[0:1], 2, v[0:1]
	s_waitcnt lgkmcnt(0)
	v_mov_b32_e32 v2, s1
	v_add_co_u32_e32 v0, vcc, s0, v0
	v_addc_co_u32_e32 v1, vcc, v2, v1, vcc
	global_store_dwordx4 v[0:1], v[4:7], off
	s_endpgm
	.section	.rodata,"a",@progbits
	.p2align	6, 0x0
	.amdhsa_kernel _Z20warp_exchange_kernelILj256ELj4ELj64ELN6hipcub21WarpExchangeAlgorithmE0E18BlockedToStripedOpiEvPT4_
		.amdhsa_group_segment_fixed_size 4096
		.amdhsa_private_segment_fixed_size 0
		.amdhsa_kernarg_size 8
		.amdhsa_user_sgpr_count 6
		.amdhsa_user_sgpr_private_segment_buffer 1
		.amdhsa_user_sgpr_dispatch_ptr 0
		.amdhsa_user_sgpr_queue_ptr 0
		.amdhsa_user_sgpr_kernarg_segment_ptr 1
		.amdhsa_user_sgpr_dispatch_id 0
		.amdhsa_user_sgpr_flat_scratch_init 0
		.amdhsa_user_sgpr_kernarg_preload_length 0
		.amdhsa_user_sgpr_kernarg_preload_offset 0
		.amdhsa_user_sgpr_private_segment_size 0
		.amdhsa_uses_dynamic_stack 0
		.amdhsa_system_sgpr_private_segment_wavefront_offset 0
		.amdhsa_system_sgpr_workgroup_id_x 1
		.amdhsa_system_sgpr_workgroup_id_y 0
		.amdhsa_system_sgpr_workgroup_id_z 0
		.amdhsa_system_sgpr_workgroup_info 0
		.amdhsa_system_vgpr_workitem_id 0
		.amdhsa_next_free_vgpr 8
		.amdhsa_next_free_sgpr 7
		.amdhsa_accum_offset 8
		.amdhsa_reserve_vcc 1
		.amdhsa_reserve_flat_scratch 0
		.amdhsa_float_round_mode_32 0
		.amdhsa_float_round_mode_16_64 0
		.amdhsa_float_denorm_mode_32 3
		.amdhsa_float_denorm_mode_16_64 3
		.amdhsa_dx10_clamp 1
		.amdhsa_ieee_mode 1
		.amdhsa_fp16_overflow 0
		.amdhsa_tg_split 0
		.amdhsa_exception_fp_ieee_invalid_op 0
		.amdhsa_exception_fp_denorm_src 0
		.amdhsa_exception_fp_ieee_div_zero 0
		.amdhsa_exception_fp_ieee_overflow 0
		.amdhsa_exception_fp_ieee_underflow 0
		.amdhsa_exception_fp_ieee_inexact 0
		.amdhsa_exception_int_div_zero 0
	.end_amdhsa_kernel
	.section	.text._Z20warp_exchange_kernelILj256ELj4ELj64ELN6hipcub21WarpExchangeAlgorithmE0E18BlockedToStripedOpiEvPT4_,"axG",@progbits,_Z20warp_exchange_kernelILj256ELj4ELj64ELN6hipcub21WarpExchangeAlgorithmE0E18BlockedToStripedOpiEvPT4_,comdat
.Lfunc_end26:
	.size	_Z20warp_exchange_kernelILj256ELj4ELj64ELN6hipcub21WarpExchangeAlgorithmE0E18BlockedToStripedOpiEvPT4_, .Lfunc_end26-_Z20warp_exchange_kernelILj256ELj4ELj64ELN6hipcub21WarpExchangeAlgorithmE0E18BlockedToStripedOpiEvPT4_
                                        ; -- End function
	.section	.AMDGPU.csdata,"",@progbits
; Kernel info:
; codeLenInByte = 144
; NumSgprs: 11
; NumVgprs: 8
; NumAgprs: 0
; TotalNumVgprs: 8
; ScratchSize: 0
; MemoryBound: 0
; FloatMode: 240
; IeeeMode: 1
; LDSByteSize: 4096 bytes/workgroup (compile time only)
; SGPRBlocks: 1
; VGPRBlocks: 0
; NumSGPRsForWavesPerEU: 11
; NumVGPRsForWavesPerEU: 8
; AccumOffset: 8
; Occupancy: 8
; WaveLimiterHint : 0
; COMPUTE_PGM_RSRC2:SCRATCH_EN: 0
; COMPUTE_PGM_RSRC2:USER_SGPR: 6
; COMPUTE_PGM_RSRC2:TRAP_HANDLER: 0
; COMPUTE_PGM_RSRC2:TGID_X_EN: 1
; COMPUTE_PGM_RSRC2:TGID_Y_EN: 0
; COMPUTE_PGM_RSRC2:TGID_Z_EN: 0
; COMPUTE_PGM_RSRC2:TIDIG_COMP_CNT: 0
; COMPUTE_PGM_RSRC3_GFX90A:ACCUM_OFFSET: 1
; COMPUTE_PGM_RSRC3_GFX90A:TG_SPLIT: 0
	.section	.text._Z20warp_exchange_kernelILj256ELj4ELj64ELN6hipcub21WarpExchangeAlgorithmE1E18BlockedToStripedOpiEvPT4_,"axG",@progbits,_Z20warp_exchange_kernelILj256ELj4ELj64ELN6hipcub21WarpExchangeAlgorithmE1E18BlockedToStripedOpiEvPT4_,comdat
	.protected	_Z20warp_exchange_kernelILj256ELj4ELj64ELN6hipcub21WarpExchangeAlgorithmE1E18BlockedToStripedOpiEvPT4_ ; -- Begin function _Z20warp_exchange_kernelILj256ELj4ELj64ELN6hipcub21WarpExchangeAlgorithmE1E18BlockedToStripedOpiEvPT4_
	.globl	_Z20warp_exchange_kernelILj256ELj4ELj64ELN6hipcub21WarpExchangeAlgorithmE1E18BlockedToStripedOpiEvPT4_
	.p2align	8
	.type	_Z20warp_exchange_kernelILj256ELj4ELj64ELN6hipcub21WarpExchangeAlgorithmE1E18BlockedToStripedOpiEvPT4_,@function
_Z20warp_exchange_kernelILj256ELj4ELj64ELN6hipcub21WarpExchangeAlgorithmE1E18BlockedToStripedOpiEvPT4_: ; @_Z20warp_exchange_kernelILj256ELj4ELj64ELN6hipcub21WarpExchangeAlgorithmE1E18BlockedToStripedOpiEvPT4_
; %bb.0:
	v_mbcnt_lo_u32_b32 v2, -1, 0
	v_mbcnt_hi_u32_b32 v2, -1, v2
	v_lshrrev_b32_e32 v5, 2, v2
	v_and_b32_e32 v6, 64, v2
	v_or_b32_e32 v3, v5, v6
	v_mov_b32_e32 v1, 0
	v_mov_b32_e32 v7, 1
	v_lshlrev_b32_e32 v8, 2, v3
	v_mov_b32_e32 v4, 2
	ds_bpermute_b32 v3, v8, v1
	ds_bpermute_b32 v9, v8, v7
	;; [unrolled: 1-line block ×3, first 2 shown]
	v_and_b32_e32 v2, 3, v2
	v_cmp_eq_u32_e32 vcc, 1, v2
	v_mov_b32_e32 v10, 3
	s_waitcnt lgkmcnt(1)
	v_cndmask_b32_e32 v3, v3, v9, vcc
	v_cmp_eq_u32_e64 s[0:1], 2, v2
	s_waitcnt lgkmcnt(0)
	v_cndmask_b32_e64 v3, v3, v11, s[0:1]
	ds_bpermute_b32 v9, v8, v10
	ds_bpermute_b32 v11, v8, v1 offset:64
	ds_bpermute_b32 v12, v8, v7 offset:64
	v_add_u32_e32 v5, 48, v5
	v_and_or_b32 v5, v5, 63, v6
	v_lshlrev_b32_e32 v5, 2, v5
	ds_bpermute_b32 v16, v8, v7 offset:128
	v_cmp_eq_u32_e64 s[2:3], 3, v2
	ds_bpermute_b32 v6, v5, v1
	ds_bpermute_b32 v7, v5, v7
	ds_bpermute_b32 v15, v8, v1 offset:128
	s_waitcnt lgkmcnt(6)
	v_cndmask_b32_e64 v2, v3, v9, s[2:3]
	s_waitcnt lgkmcnt(4)
	v_cndmask_b32_e32 v3, v11, v12, vcc
	ds_bpermute_b32 v12, v5, v4
	s_load_dwordx2 s[4:5], s[4:5], 0x0
	ds_bpermute_b32 v13, v8, v4 offset:64
	ds_bpermute_b32 v11, v8, v4 offset:128
	ds_bpermute_b32 v5, v5, v10
	ds_bpermute_b32 v14, v8, v10 offset:64
	ds_bpermute_b32 v8, v8, v10 offset:128
	v_lshlrev_b32_e32 v0, 2, v0
	s_waitcnt lgkmcnt(0)
	v_cndmask_b32_e32 v6, v6, v7, vcc
	v_lshl_or_b32 v0, s6, 10, v0
	v_cndmask_b32_e32 v9, v15, v16, vcc
	v_cndmask_b32_e64 v6, v6, v12, s[0:1]
	v_lshlrev_b64 v[0:1], 2, v[0:1]
	v_cndmask_b32_e64 v3, v3, v13, s[0:1]
	v_cndmask_b32_e64 v4, v9, v11, s[0:1]
	;; [unrolled: 1-line block ×3, first 2 shown]
	v_mov_b32_e32 v6, s5
	v_add_co_u32_e32 v0, vcc, s4, v0
	v_cndmask_b32_e64 v3, v3, v14, s[2:3]
	v_cndmask_b32_e64 v4, v4, v8, s[2:3]
	v_addc_co_u32_e32 v1, vcc, v6, v1, vcc
	global_store_dwordx4 v[0:1], v[2:5], off
	s_endpgm
	.section	.rodata,"a",@progbits
	.p2align	6, 0x0
	.amdhsa_kernel _Z20warp_exchange_kernelILj256ELj4ELj64ELN6hipcub21WarpExchangeAlgorithmE1E18BlockedToStripedOpiEvPT4_
		.amdhsa_group_segment_fixed_size 0
		.amdhsa_private_segment_fixed_size 0
		.amdhsa_kernarg_size 8
		.amdhsa_user_sgpr_count 6
		.amdhsa_user_sgpr_private_segment_buffer 1
		.amdhsa_user_sgpr_dispatch_ptr 0
		.amdhsa_user_sgpr_queue_ptr 0
		.amdhsa_user_sgpr_kernarg_segment_ptr 1
		.amdhsa_user_sgpr_dispatch_id 0
		.amdhsa_user_sgpr_flat_scratch_init 0
		.amdhsa_user_sgpr_kernarg_preload_length 0
		.amdhsa_user_sgpr_kernarg_preload_offset 0
		.amdhsa_user_sgpr_private_segment_size 0
		.amdhsa_uses_dynamic_stack 0
		.amdhsa_system_sgpr_private_segment_wavefront_offset 0
		.amdhsa_system_sgpr_workgroup_id_x 1
		.amdhsa_system_sgpr_workgroup_id_y 0
		.amdhsa_system_sgpr_workgroup_id_z 0
		.amdhsa_system_sgpr_workgroup_info 0
		.amdhsa_system_vgpr_workitem_id 0
		.amdhsa_next_free_vgpr 17
		.amdhsa_next_free_sgpr 7
		.amdhsa_accum_offset 20
		.amdhsa_reserve_vcc 1
		.amdhsa_reserve_flat_scratch 0
		.amdhsa_float_round_mode_32 0
		.amdhsa_float_round_mode_16_64 0
		.amdhsa_float_denorm_mode_32 3
		.amdhsa_float_denorm_mode_16_64 3
		.amdhsa_dx10_clamp 1
		.amdhsa_ieee_mode 1
		.amdhsa_fp16_overflow 0
		.amdhsa_tg_split 0
		.amdhsa_exception_fp_ieee_invalid_op 0
		.amdhsa_exception_fp_denorm_src 0
		.amdhsa_exception_fp_ieee_div_zero 0
		.amdhsa_exception_fp_ieee_overflow 0
		.amdhsa_exception_fp_ieee_underflow 0
		.amdhsa_exception_fp_ieee_inexact 0
		.amdhsa_exception_int_div_zero 0
	.end_amdhsa_kernel
	.section	.text._Z20warp_exchange_kernelILj256ELj4ELj64ELN6hipcub21WarpExchangeAlgorithmE1E18BlockedToStripedOpiEvPT4_,"axG",@progbits,_Z20warp_exchange_kernelILj256ELj4ELj64ELN6hipcub21WarpExchangeAlgorithmE1E18BlockedToStripedOpiEvPT4_,comdat
.Lfunc_end27:
	.size	_Z20warp_exchange_kernelILj256ELj4ELj64ELN6hipcub21WarpExchangeAlgorithmE1E18BlockedToStripedOpiEvPT4_, .Lfunc_end27-_Z20warp_exchange_kernelILj256ELj4ELj64ELN6hipcub21WarpExchangeAlgorithmE1E18BlockedToStripedOpiEvPT4_
                                        ; -- End function
	.section	.AMDGPU.csdata,"",@progbits
; Kernel info:
; codeLenInByte = 368
; NumSgprs: 11
; NumVgprs: 17
; NumAgprs: 0
; TotalNumVgprs: 17
; ScratchSize: 0
; MemoryBound: 0
; FloatMode: 240
; IeeeMode: 1
; LDSByteSize: 0 bytes/workgroup (compile time only)
; SGPRBlocks: 1
; VGPRBlocks: 2
; NumSGPRsForWavesPerEU: 11
; NumVGPRsForWavesPerEU: 17
; AccumOffset: 20
; Occupancy: 8
; WaveLimiterHint : 0
; COMPUTE_PGM_RSRC2:SCRATCH_EN: 0
; COMPUTE_PGM_RSRC2:USER_SGPR: 6
; COMPUTE_PGM_RSRC2:TRAP_HANDLER: 0
; COMPUTE_PGM_RSRC2:TGID_X_EN: 1
; COMPUTE_PGM_RSRC2:TGID_Y_EN: 0
; COMPUTE_PGM_RSRC2:TGID_Z_EN: 0
; COMPUTE_PGM_RSRC2:TIDIG_COMP_CNT: 0
; COMPUTE_PGM_RSRC3_GFX90A:ACCUM_OFFSET: 4
; COMPUTE_PGM_RSRC3_GFX90A:TG_SPLIT: 0
	.section	.text._Z39warp_exchange_scatter_to_striped_kernelIiLj256ELj4ELj64EiEvPT3_,"axG",@progbits,_Z39warp_exchange_scatter_to_striped_kernelIiLj256ELj4ELj64EiEvPT3_,comdat
	.protected	_Z39warp_exchange_scatter_to_striped_kernelIiLj256ELj4ELj64EiEvPT3_ ; -- Begin function _Z39warp_exchange_scatter_to_striped_kernelIiLj256ELj4ELj64EiEvPT3_
	.globl	_Z39warp_exchange_scatter_to_striped_kernelIiLj256ELj4ELj64EiEvPT3_
	.p2align	8
	.type	_Z39warp_exchange_scatter_to_striped_kernelIiLj256ELj4ELj64EiEvPT3_,@function
_Z39warp_exchange_scatter_to_striped_kernelIiLj256ELj4ELj64EiEvPT3_: ; @_Z39warp_exchange_scatter_to_striped_kernelIiLj256ELj4ELj64EiEvPT3_
; %bb.0:
	v_lshrrev_b32_e32 v2, 6, v0
	v_lshlrev_b32_e32 v5, 10, v2
	v_lshlrev_b32_e32 v2, 4, v2
	v_xor_b32_e32 v3, 0xfc, v2
	v_mov_b32_e32 v1, 0
	v_or_b32_e32 v3, v5, v3
	s_load_dwordx2 s[0:1], s[4:5], 0x0
	v_mbcnt_lo_u32_b32 v6, -1, 0
	ds_write_b32 v3, v1
	v_sub_u32_e32 v7, v5, v2
	v_mov_b32_e32 v2, 3
	v_mov_b32_e32 v3, 2
	;; [unrolled: 1-line block ×3, first 2 shown]
	ds_write_b96 v7, v[2:4] offset:240
	v_mbcnt_hi_u32_b32 v2, -1, v6
	v_lshl_or_b32 v4, v2, 2, v5
	; wave barrier
	ds_read2st64_b32 v[2:3], v4 offset1:1
	ds_read2st64_b32 v[4:5], v4 offset0:2 offset1:3
	v_lshl_or_b32 v0, s6, 10, v0
	v_lshlrev_b64 v[6:7], 2, v[0:1]
	s_waitcnt lgkmcnt(0)
	v_mov_b32_e32 v8, s1
	v_add_co_u32_e32 v6, vcc, s0, v6
	v_addc_co_u32_e32 v7, vcc, v8, v7, vcc
	global_store_dword v[6:7], v2, off
	v_or_b32_e32 v6, 0x100, v0
	v_mov_b32_e32 v7, v1
	v_lshlrev_b64 v[6:7], 2, v[6:7]
	v_add_co_u32_e32 v6, vcc, s0, v6
	v_addc_co_u32_e32 v7, vcc, v8, v7, vcc
	global_store_dword v[6:7], v3, off
	v_or_b32_e32 v2, 0x200, v0
	v_mov_b32_e32 v3, v1
	v_lshlrev_b64 v[2:3], 2, v[2:3]
	v_add_co_u32_e32 v2, vcc, s0, v2
	v_or_b32_e32 v0, 0x300, v0
	v_addc_co_u32_e32 v3, vcc, v8, v3, vcc
	v_lshlrev_b64 v[0:1], 2, v[0:1]
	v_add_co_u32_e32 v0, vcc, s0, v0
	v_addc_co_u32_e32 v1, vcc, v8, v1, vcc
	global_store_dword v[2:3], v4, off
	global_store_dword v[0:1], v5, off
	s_endpgm
	.section	.rodata,"a",@progbits
	.p2align	6, 0x0
	.amdhsa_kernel _Z39warp_exchange_scatter_to_striped_kernelIiLj256ELj4ELj64EiEvPT3_
		.amdhsa_group_segment_fixed_size 4096
		.amdhsa_private_segment_fixed_size 0
		.amdhsa_kernarg_size 8
		.amdhsa_user_sgpr_count 6
		.amdhsa_user_sgpr_private_segment_buffer 1
		.amdhsa_user_sgpr_dispatch_ptr 0
		.amdhsa_user_sgpr_queue_ptr 0
		.amdhsa_user_sgpr_kernarg_segment_ptr 1
		.amdhsa_user_sgpr_dispatch_id 0
		.amdhsa_user_sgpr_flat_scratch_init 0
		.amdhsa_user_sgpr_kernarg_preload_length 0
		.amdhsa_user_sgpr_kernarg_preload_offset 0
		.amdhsa_user_sgpr_private_segment_size 0
		.amdhsa_uses_dynamic_stack 0
		.amdhsa_system_sgpr_private_segment_wavefront_offset 0
		.amdhsa_system_sgpr_workgroup_id_x 1
		.amdhsa_system_sgpr_workgroup_id_y 0
		.amdhsa_system_sgpr_workgroup_id_z 0
		.amdhsa_system_sgpr_workgroup_info 0
		.amdhsa_system_vgpr_workitem_id 0
		.amdhsa_next_free_vgpr 9
		.amdhsa_next_free_sgpr 7
		.amdhsa_accum_offset 12
		.amdhsa_reserve_vcc 1
		.amdhsa_reserve_flat_scratch 0
		.amdhsa_float_round_mode_32 0
		.amdhsa_float_round_mode_16_64 0
		.amdhsa_float_denorm_mode_32 3
		.amdhsa_float_denorm_mode_16_64 3
		.amdhsa_dx10_clamp 1
		.amdhsa_ieee_mode 1
		.amdhsa_fp16_overflow 0
		.amdhsa_tg_split 0
		.amdhsa_exception_fp_ieee_invalid_op 0
		.amdhsa_exception_fp_denorm_src 0
		.amdhsa_exception_fp_ieee_div_zero 0
		.amdhsa_exception_fp_ieee_overflow 0
		.amdhsa_exception_fp_ieee_underflow 0
		.amdhsa_exception_fp_ieee_inexact 0
		.amdhsa_exception_int_div_zero 0
	.end_amdhsa_kernel
	.section	.text._Z39warp_exchange_scatter_to_striped_kernelIiLj256ELj4ELj64EiEvPT3_,"axG",@progbits,_Z39warp_exchange_scatter_to_striped_kernelIiLj256ELj4ELj64EiEvPT3_,comdat
.Lfunc_end28:
	.size	_Z39warp_exchange_scatter_to_striped_kernelIiLj256ELj4ELj64EiEvPT3_, .Lfunc_end28-_Z39warp_exchange_scatter_to_striped_kernelIiLj256ELj4ELj64EiEvPT3_
                                        ; -- End function
	.section	.AMDGPU.csdata,"",@progbits
; Kernel info:
; codeLenInByte = 256
; NumSgprs: 11
; NumVgprs: 9
; NumAgprs: 0
; TotalNumVgprs: 9
; ScratchSize: 0
; MemoryBound: 0
; FloatMode: 240
; IeeeMode: 1
; LDSByteSize: 4096 bytes/workgroup (compile time only)
; SGPRBlocks: 1
; VGPRBlocks: 1
; NumSGPRsForWavesPerEU: 11
; NumVGPRsForWavesPerEU: 9
; AccumOffset: 12
; Occupancy: 8
; WaveLimiterHint : 0
; COMPUTE_PGM_RSRC2:SCRATCH_EN: 0
; COMPUTE_PGM_RSRC2:USER_SGPR: 6
; COMPUTE_PGM_RSRC2:TRAP_HANDLER: 0
; COMPUTE_PGM_RSRC2:TGID_X_EN: 1
; COMPUTE_PGM_RSRC2:TGID_Y_EN: 0
; COMPUTE_PGM_RSRC2:TGID_Z_EN: 0
; COMPUTE_PGM_RSRC2:TIDIG_COMP_CNT: 0
; COMPUTE_PGM_RSRC3_GFX90A:ACCUM_OFFSET: 2
; COMPUTE_PGM_RSRC3_GFX90A:TG_SPLIT: 0
	.text
	.p2alignl 6, 3212836864
	.fill 256, 4, 3212836864
	.type	__hip_cuid_a2ff0d3830e5b83e,@object ; @__hip_cuid_a2ff0d3830e5b83e
	.section	.bss,"aw",@nobits
	.globl	__hip_cuid_a2ff0d3830e5b83e
__hip_cuid_a2ff0d3830e5b83e:
	.byte	0                               ; 0x0
	.size	__hip_cuid_a2ff0d3830e5b83e, 1

	.ident	"AMD clang version 19.0.0git (https://github.com/RadeonOpenCompute/llvm-project roc-6.4.0 25133 c7fe45cf4b819c5991fe208aaa96edf142730f1d)"
	.section	".note.GNU-stack","",@progbits
	.addrsig
	.addrsig_sym __hip_cuid_a2ff0d3830e5b83e
	.amdgpu_metadata
---
amdhsa.kernels:
  - .agpr_count:     0
    .args:
      - .address_space:  global
        .offset:         0
        .size:           8
        .value_kind:     global_buffer
    .group_segment_fixed_size: 2048
    .kernarg_segment_align: 8
    .kernarg_segment_size: 8
    .language:       OpenCL C
    .language_version:
      - 2
      - 0
    .max_flat_workgroup_size: 128
    .name:           _Z20warp_exchange_kernelILj128ELj4ELj16ELN6hipcub21WarpExchangeAlgorithmE0E18StripedToBlockedOpiEvPT4_
    .private_segment_fixed_size: 0
    .sgpr_count:     11
    .sgpr_spill_count: 0
    .symbol:         _Z20warp_exchange_kernelILj128ELj4ELj16ELN6hipcub21WarpExchangeAlgorithmE0E18StripedToBlockedOpiEvPT4_.kd
    .uniform_work_group_size: 1
    .uses_dynamic_stack: false
    .vgpr_count:     7
    .vgpr_spill_count: 0
    .wavefront_size: 64
  - .agpr_count:     0
    .args:
      - .address_space:  global
        .offset:         0
        .size:           8
        .value_kind:     global_buffer
    .group_segment_fixed_size: 2048
    .kernarg_segment_align: 8
    .kernarg_segment_size: 8
    .language:       OpenCL C
    .language_version:
      - 2
      - 0
    .max_flat_workgroup_size: 128
    .name:           _Z20warp_exchange_kernelILj128ELj4ELj16ELN6hipcub21WarpExchangeAlgorithmE0E18BlockedToStripedOpiEvPT4_
    .private_segment_fixed_size: 0
    .sgpr_count:     11
    .sgpr_spill_count: 0
    .symbol:         _Z20warp_exchange_kernelILj128ELj4ELj16ELN6hipcub21WarpExchangeAlgorithmE0E18BlockedToStripedOpiEvPT4_.kd
    .uniform_work_group_size: 1
    .uses_dynamic_stack: false
    .vgpr_count:     8
    .vgpr_spill_count: 0
    .wavefront_size: 64
  - .agpr_count:     0
    .args:
      - .address_space:  global
        .offset:         0
        .size:           8
        .value_kind:     global_buffer
    .group_segment_fixed_size: 8192
    .kernarg_segment_align: 8
    .kernarg_segment_size: 8
    .language:       OpenCL C
    .language_version:
      - 2
      - 0
    .max_flat_workgroup_size: 128
    .name:           _Z20warp_exchange_kernelILj128ELj16ELj16ELN6hipcub21WarpExchangeAlgorithmE0E18StripedToBlockedOpiEvPT4_
    .private_segment_fixed_size: 0
    .sgpr_count:     11
    .sgpr_spill_count: 0
    .symbol:         _Z20warp_exchange_kernelILj128ELj16ELj16ELN6hipcub21WarpExchangeAlgorithmE0E18StripedToBlockedOpiEvPT4_.kd
    .uniform_work_group_size: 1
    .uses_dynamic_stack: false
    .vgpr_count:     19
    .vgpr_spill_count: 0
    .wavefront_size: 64
  - .agpr_count:     0
    .args:
      - .address_space:  global
        .offset:         0
        .size:           8
        .value_kind:     global_buffer
    .group_segment_fixed_size: 8192
    .kernarg_segment_align: 8
    .kernarg_segment_size: 8
    .language:       OpenCL C
    .language_version:
      - 2
      - 0
    .max_flat_workgroup_size: 128
    .name:           _Z20warp_exchange_kernelILj128ELj16ELj16ELN6hipcub21WarpExchangeAlgorithmE0E18BlockedToStripedOpiEvPT4_
    .private_segment_fixed_size: 0
    .sgpr_count:     11
    .sgpr_spill_count: 0
    .symbol:         _Z20warp_exchange_kernelILj128ELj16ELj16ELN6hipcub21WarpExchangeAlgorithmE0E18BlockedToStripedOpiEvPT4_.kd
    .uniform_work_group_size: 1
    .uses_dynamic_stack: false
    .vgpr_count:     20
    .vgpr_spill_count: 0
    .wavefront_size: 64
  - .agpr_count:     0
    .args:
      - .address_space:  global
        .offset:         0
        .size:           8
        .value_kind:     global_buffer
    .group_segment_fixed_size: 2048
    .kernarg_segment_align: 8
    .kernarg_segment_size: 8
    .language:       OpenCL C
    .language_version:
      - 2
      - 0
    .max_flat_workgroup_size: 128
    .name:           _Z20warp_exchange_kernelILj128ELj4ELj32ELN6hipcub21WarpExchangeAlgorithmE0E18StripedToBlockedOpiEvPT4_
    .private_segment_fixed_size: 0
    .sgpr_count:     11
    .sgpr_spill_count: 0
    .symbol:         _Z20warp_exchange_kernelILj128ELj4ELj32ELN6hipcub21WarpExchangeAlgorithmE0E18StripedToBlockedOpiEvPT4_.kd
    .uniform_work_group_size: 1
    .uses_dynamic_stack: false
    .vgpr_count:     7
    .vgpr_spill_count: 0
    .wavefront_size: 64
  - .agpr_count:     0
    .args:
      - .address_space:  global
        .offset:         0
        .size:           8
        .value_kind:     global_buffer
    .group_segment_fixed_size: 2048
    .kernarg_segment_align: 8
    .kernarg_segment_size: 8
    .language:       OpenCL C
    .language_version:
      - 2
      - 0
    .max_flat_workgroup_size: 128
    .name:           _Z20warp_exchange_kernelILj128ELj4ELj32ELN6hipcub21WarpExchangeAlgorithmE0E18BlockedToStripedOpiEvPT4_
    .private_segment_fixed_size: 0
    .sgpr_count:     11
    .sgpr_spill_count: 0
    .symbol:         _Z20warp_exchange_kernelILj128ELj4ELj32ELN6hipcub21WarpExchangeAlgorithmE0E18BlockedToStripedOpiEvPT4_.kd
    .uniform_work_group_size: 1
    .uses_dynamic_stack: false
    .vgpr_count:     8
    .vgpr_spill_count: 0
    .wavefront_size: 64
  - .agpr_count:     0
    .args:
      - .address_space:  global
        .offset:         0
        .size:           8
        .value_kind:     global_buffer
    .group_segment_fixed_size: 4096
    .kernarg_segment_align: 8
    .kernarg_segment_size: 8
    .language:       OpenCL C
    .language_version:
      - 2
      - 0
    .max_flat_workgroup_size: 256
    .name:           _Z20warp_exchange_kernelILj256ELj4ELj32ELN6hipcub21WarpExchangeAlgorithmE0E18StripedToBlockedOpiEvPT4_
    .private_segment_fixed_size: 0
    .sgpr_count:     11
    .sgpr_spill_count: 0
    .symbol:         _Z20warp_exchange_kernelILj256ELj4ELj32ELN6hipcub21WarpExchangeAlgorithmE0E18StripedToBlockedOpiEvPT4_.kd
    .uniform_work_group_size: 1
    .uses_dynamic_stack: false
    .vgpr_count:     7
    .vgpr_spill_count: 0
    .wavefront_size: 64
  - .agpr_count:     0
    .args:
      - .address_space:  global
        .offset:         0
        .size:           8
        .value_kind:     global_buffer
    .group_segment_fixed_size: 4096
    .kernarg_segment_align: 8
    .kernarg_segment_size: 8
    .language:       OpenCL C
    .language_version:
      - 2
      - 0
    .max_flat_workgroup_size: 256
    .name:           _Z20warp_exchange_kernelILj256ELj4ELj32ELN6hipcub21WarpExchangeAlgorithmE0E18BlockedToStripedOpiEvPT4_
    .private_segment_fixed_size: 0
    .sgpr_count:     11
    .sgpr_spill_count: 0
    .symbol:         _Z20warp_exchange_kernelILj256ELj4ELj32ELN6hipcub21WarpExchangeAlgorithmE0E18BlockedToStripedOpiEvPT4_.kd
    .uniform_work_group_size: 1
    .uses_dynamic_stack: false
    .vgpr_count:     8
    .vgpr_spill_count: 0
    .wavefront_size: 64
  - .agpr_count:     0
    .args:
      - .address_space:  global
        .offset:         0
        .size:           8
        .value_kind:     global_buffer
    .group_segment_fixed_size: 2048
    .kernarg_segment_align: 8
    .kernarg_segment_size: 8
    .language:       OpenCL C
    .language_version:
      - 2
      - 0
    .max_flat_workgroup_size: 128
    .name:           _Z39warp_exchange_scatter_to_striped_kernelIiLj128ELj4ELj16EiEvPT3_
    .private_segment_fixed_size: 0
    .sgpr_count:     11
    .sgpr_spill_count: 0
    .symbol:         _Z39warp_exchange_scatter_to_striped_kernelIiLj128ELj4ELj16EiEvPT3_.kd
    .uniform_work_group_size: 1
    .uses_dynamic_stack: false
    .vgpr_count:     9
    .vgpr_spill_count: 0
    .wavefront_size: 64
  - .agpr_count:     0
    .args:
      - .address_space:  global
        .offset:         0
        .size:           8
        .value_kind:     global_buffer
    .group_segment_fixed_size: 2048
    .kernarg_segment_align: 8
    .kernarg_segment_size: 8
    .language:       OpenCL C
    .language_version:
      - 2
      - 0
    .max_flat_workgroup_size: 128
    .name:           _Z39warp_exchange_scatter_to_striped_kernelIiLj128ELj4ELj32EiEvPT3_
    .private_segment_fixed_size: 0
    .sgpr_count:     11
    .sgpr_spill_count: 0
    .symbol:         _Z39warp_exchange_scatter_to_striped_kernelIiLj128ELj4ELj32EiEvPT3_.kd
    .uniform_work_group_size: 1
    .uses_dynamic_stack: false
    .vgpr_count:     9
    .vgpr_spill_count: 0
    .wavefront_size: 64
  - .agpr_count:     0
    .args:
      - .address_space:  global
        .offset:         0
        .size:           8
        .value_kind:     global_buffer
    .group_segment_fixed_size: 4096
    .kernarg_segment_align: 8
    .kernarg_segment_size: 8
    .language:       OpenCL C
    .language_version:
      - 2
      - 0
    .max_flat_workgroup_size: 256
    .name:           _Z39warp_exchange_scatter_to_striped_kernelIiLj256ELj4ELj32EiEvPT3_
    .private_segment_fixed_size: 0
    .sgpr_count:     11
    .sgpr_spill_count: 0
    .symbol:         _Z39warp_exchange_scatter_to_striped_kernelIiLj256ELj4ELj32EiEvPT3_.kd
    .uniform_work_group_size: 1
    .uses_dynamic_stack: false
    .vgpr_count:     9
    .vgpr_spill_count: 0
    .wavefront_size: 64
  - .agpr_count:     0
    .args:
      - .address_space:  global
        .offset:         0
        .size:           8
        .value_kind:     global_buffer
    .group_segment_fixed_size: 0
    .kernarg_segment_align: 8
    .kernarg_segment_size: 8
    .language:       OpenCL C
    .language_version:
      - 2
      - 0
    .max_flat_workgroup_size: 128
    .name:           _Z20warp_exchange_kernelILj128ELj16ELj16ELN6hipcub21WarpExchangeAlgorithmE1E18StripedToBlockedOpiEvPT4_
    .private_segment_fixed_size: 80
    .sgpr_count:     14
    .sgpr_spill_count: 0
    .symbol:         _Z20warp_exchange_kernelILj128ELj16ELj16ELN6hipcub21WarpExchangeAlgorithmE1E18StripedToBlockedOpiEvPT4_.kd
    .uniform_work_group_size: 1
    .uses_dynamic_stack: false
    .vgpr_count:     19
    .vgpr_spill_count: 0
    .wavefront_size: 64
  - .agpr_count:     0
    .args:
      - .address_space:  global
        .offset:         0
        .size:           8
        .value_kind:     global_buffer
    .group_segment_fixed_size: 0
    .kernarg_segment_align: 8
    .kernarg_segment_size: 8
    .language:       OpenCL C
    .language_version:
      - 2
      - 0
    .max_flat_workgroup_size: 128
    .name:           _Z20warp_exchange_kernelILj128ELj16ELj16ELN6hipcub21WarpExchangeAlgorithmE1E18BlockedToStripedOpiEvPT4_
    .private_segment_fixed_size: 80
    .sgpr_count:     14
    .sgpr_spill_count: 0
    .symbol:         _Z20warp_exchange_kernelILj128ELj16ELj16ELN6hipcub21WarpExchangeAlgorithmE1E18BlockedToStripedOpiEvPT4_.kd
    .uniform_work_group_size: 1
    .uses_dynamic_stack: false
    .vgpr_count:     19
    .vgpr_spill_count: 0
    .wavefront_size: 64
  - .agpr_count:     0
    .args:
      - .address_space:  global
        .offset:         0
        .size:           8
        .value_kind:     global_buffer
    .group_segment_fixed_size: 0
    .kernarg_segment_align: 8
    .kernarg_segment_size: 8
    .language:       OpenCL C
    .language_version:
      - 2
      - 0
    .max_flat_workgroup_size: 128
    .name:           _Z20warp_exchange_kernelILj128ELj4ELj16ELN6hipcub21WarpExchangeAlgorithmE1E18StripedToBlockedOpiEvPT4_
    .private_segment_fixed_size: 0
    .sgpr_count:     11
    .sgpr_spill_count: 0
    .symbol:         _Z20warp_exchange_kernelILj128ELj4ELj16ELN6hipcub21WarpExchangeAlgorithmE1E18StripedToBlockedOpiEvPT4_.kd
    .uniform_work_group_size: 1
    .uses_dynamic_stack: false
    .vgpr_count:     15
    .vgpr_spill_count: 0
    .wavefront_size: 64
  - .agpr_count:     0
    .args:
      - .address_space:  global
        .offset:         0
        .size:           8
        .value_kind:     global_buffer
    .group_segment_fixed_size: 0
    .kernarg_segment_align: 8
    .kernarg_segment_size: 8
    .language:       OpenCL C
    .language_version:
      - 2
      - 0
    .max_flat_workgroup_size: 128
    .name:           _Z20warp_exchange_kernelILj128ELj4ELj16ELN6hipcub21WarpExchangeAlgorithmE1E18BlockedToStripedOpiEvPT4_
    .private_segment_fixed_size: 0
    .sgpr_count:     11
    .sgpr_spill_count: 0
    .symbol:         _Z20warp_exchange_kernelILj128ELj4ELj16ELN6hipcub21WarpExchangeAlgorithmE1E18BlockedToStripedOpiEvPT4_.kd
    .uniform_work_group_size: 1
    .uses_dynamic_stack: false
    .vgpr_count:     15
    .vgpr_spill_count: 0
    .wavefront_size: 64
  - .agpr_count:     0
    .args:
      - .address_space:  global
        .offset:         0
        .size:           8
        .value_kind:     global_buffer
    .group_segment_fixed_size: 0
    .kernarg_segment_align: 8
    .kernarg_segment_size: 8
    .language:       OpenCL C
    .language_version:
      - 2
      - 0
    .max_flat_workgroup_size: 128
    .name:           _Z20warp_exchange_kernelILj128ELj4ELj32ELN6hipcub21WarpExchangeAlgorithmE1E18StripedToBlockedOpiEvPT4_
    .private_segment_fixed_size: 0
    .sgpr_count:     11
    .sgpr_spill_count: 0
    .symbol:         _Z20warp_exchange_kernelILj128ELj4ELj32ELN6hipcub21WarpExchangeAlgorithmE1E18StripedToBlockedOpiEvPT4_.kd
    .uniform_work_group_size: 1
    .uses_dynamic_stack: false
    .vgpr_count:     15
    .vgpr_spill_count: 0
    .wavefront_size: 64
  - .agpr_count:     0
    .args:
      - .address_space:  global
        .offset:         0
        .size:           8
        .value_kind:     global_buffer
    .group_segment_fixed_size: 0
    .kernarg_segment_align: 8
    .kernarg_segment_size: 8
    .language:       OpenCL C
    .language_version:
      - 2
      - 0
    .max_flat_workgroup_size: 128
    .name:           _Z20warp_exchange_kernelILj128ELj4ELj32ELN6hipcub21WarpExchangeAlgorithmE1E18BlockedToStripedOpiEvPT4_
    .private_segment_fixed_size: 0
    .sgpr_count:     11
    .sgpr_spill_count: 0
    .symbol:         _Z20warp_exchange_kernelILj128ELj4ELj32ELN6hipcub21WarpExchangeAlgorithmE1E18BlockedToStripedOpiEvPT4_.kd
    .uniform_work_group_size: 1
    .uses_dynamic_stack: false
    .vgpr_count:     15
    .vgpr_spill_count: 0
    .wavefront_size: 64
  - .agpr_count:     0
    .args:
      - .address_space:  global
        .offset:         0
        .size:           8
        .value_kind:     global_buffer
    .group_segment_fixed_size: 0
    .kernarg_segment_align: 8
    .kernarg_segment_size: 8
    .language:       OpenCL C
    .language_version:
      - 2
      - 0
    .max_flat_workgroup_size: 256
    .name:           _Z20warp_exchange_kernelILj256ELj4ELj32ELN6hipcub21WarpExchangeAlgorithmE1E18StripedToBlockedOpiEvPT4_
    .private_segment_fixed_size: 0
    .sgpr_count:     11
    .sgpr_spill_count: 0
    .symbol:         _Z20warp_exchange_kernelILj256ELj4ELj32ELN6hipcub21WarpExchangeAlgorithmE1E18StripedToBlockedOpiEvPT4_.kd
    .uniform_work_group_size: 1
    .uses_dynamic_stack: false
    .vgpr_count:     15
    .vgpr_spill_count: 0
    .wavefront_size: 64
  - .agpr_count:     0
    .args:
      - .address_space:  global
        .offset:         0
        .size:           8
        .value_kind:     global_buffer
    .group_segment_fixed_size: 0
    .kernarg_segment_align: 8
    .kernarg_segment_size: 8
    .language:       OpenCL C
    .language_version:
      - 2
      - 0
    .max_flat_workgroup_size: 256
    .name:           _Z20warp_exchange_kernelILj256ELj4ELj32ELN6hipcub21WarpExchangeAlgorithmE1E18BlockedToStripedOpiEvPT4_
    .private_segment_fixed_size: 0
    .sgpr_count:     11
    .sgpr_spill_count: 0
    .symbol:         _Z20warp_exchange_kernelILj256ELj4ELj32ELN6hipcub21WarpExchangeAlgorithmE1E18BlockedToStripedOpiEvPT4_.kd
    .uniform_work_group_size: 1
    .uses_dynamic_stack: false
    .vgpr_count:     15
    .vgpr_spill_count: 0
    .wavefront_size: 64
  - .agpr_count:     0
    .args:
      - .address_space:  global
        .offset:         0
        .size:           8
        .value_kind:     global_buffer
    .group_segment_fixed_size: 2048
    .kernarg_segment_align: 8
    .kernarg_segment_size: 8
    .language:       OpenCL C
    .language_version:
      - 2
      - 0
    .max_flat_workgroup_size: 128
    .name:           _Z20warp_exchange_kernelILj128ELj4ELj64ELN6hipcub21WarpExchangeAlgorithmE0E18StripedToBlockedOpiEvPT4_
    .private_segment_fixed_size: 0
    .sgpr_count:     11
    .sgpr_spill_count: 0
    .symbol:         _Z20warp_exchange_kernelILj128ELj4ELj64ELN6hipcub21WarpExchangeAlgorithmE0E18StripedToBlockedOpiEvPT4_.kd
    .uniform_work_group_size: 1
    .uses_dynamic_stack: false
    .vgpr_count:     7
    .vgpr_spill_count: 0
    .wavefront_size: 64
  - .agpr_count:     0
    .args:
      - .address_space:  global
        .offset:         0
        .size:           8
        .value_kind:     global_buffer
    .group_segment_fixed_size: 0
    .kernarg_segment_align: 8
    .kernarg_segment_size: 8
    .language:       OpenCL C
    .language_version:
      - 2
      - 0
    .max_flat_workgroup_size: 128
    .name:           _Z20warp_exchange_kernelILj128ELj4ELj64ELN6hipcub21WarpExchangeAlgorithmE1E18StripedToBlockedOpiEvPT4_
    .private_segment_fixed_size: 0
    .sgpr_count:     11
    .sgpr_spill_count: 0
    .symbol:         _Z20warp_exchange_kernelILj128ELj4ELj64ELN6hipcub21WarpExchangeAlgorithmE1E18StripedToBlockedOpiEvPT4_.kd
    .uniform_work_group_size: 1
    .uses_dynamic_stack: false
    .vgpr_count:     15
    .vgpr_spill_count: 0
    .wavefront_size: 64
  - .agpr_count:     0
    .args:
      - .address_space:  global
        .offset:         0
        .size:           8
        .value_kind:     global_buffer
    .group_segment_fixed_size: 2048
    .kernarg_segment_align: 8
    .kernarg_segment_size: 8
    .language:       OpenCL C
    .language_version:
      - 2
      - 0
    .max_flat_workgroup_size: 128
    .name:           _Z20warp_exchange_kernelILj128ELj4ELj64ELN6hipcub21WarpExchangeAlgorithmE0E18BlockedToStripedOpiEvPT4_
    .private_segment_fixed_size: 0
    .sgpr_count:     11
    .sgpr_spill_count: 0
    .symbol:         _Z20warp_exchange_kernelILj128ELj4ELj64ELN6hipcub21WarpExchangeAlgorithmE0E18BlockedToStripedOpiEvPT4_.kd
    .uniform_work_group_size: 1
    .uses_dynamic_stack: false
    .vgpr_count:     8
    .vgpr_spill_count: 0
    .wavefront_size: 64
  - .agpr_count:     0
    .args:
      - .address_space:  global
        .offset:         0
        .size:           8
        .value_kind:     global_buffer
    .group_segment_fixed_size: 0
    .kernarg_segment_align: 8
    .kernarg_segment_size: 8
    .language:       OpenCL C
    .language_version:
      - 2
      - 0
    .max_flat_workgroup_size: 128
    .name:           _Z20warp_exchange_kernelILj128ELj4ELj64ELN6hipcub21WarpExchangeAlgorithmE1E18BlockedToStripedOpiEvPT4_
    .private_segment_fixed_size: 0
    .sgpr_count:     11
    .sgpr_spill_count: 0
    .symbol:         _Z20warp_exchange_kernelILj128ELj4ELj64ELN6hipcub21WarpExchangeAlgorithmE1E18BlockedToStripedOpiEvPT4_.kd
    .uniform_work_group_size: 1
    .uses_dynamic_stack: false
    .vgpr_count:     17
    .vgpr_spill_count: 0
    .wavefront_size: 64
  - .agpr_count:     0
    .args:
      - .address_space:  global
        .offset:         0
        .size:           8
        .value_kind:     global_buffer
    .group_segment_fixed_size: 2048
    .kernarg_segment_align: 8
    .kernarg_segment_size: 8
    .language:       OpenCL C
    .language_version:
      - 2
      - 0
    .max_flat_workgroup_size: 128
    .name:           _Z39warp_exchange_scatter_to_striped_kernelIiLj128ELj4ELj64EiEvPT3_
    .private_segment_fixed_size: 0
    .sgpr_count:     11
    .sgpr_spill_count: 0
    .symbol:         _Z39warp_exchange_scatter_to_striped_kernelIiLj128ELj4ELj64EiEvPT3_.kd
    .uniform_work_group_size: 1
    .uses_dynamic_stack: false
    .vgpr_count:     9
    .vgpr_spill_count: 0
    .wavefront_size: 64
  - .agpr_count:     0
    .args:
      - .address_space:  global
        .offset:         0
        .size:           8
        .value_kind:     global_buffer
    .group_segment_fixed_size: 4096
    .kernarg_segment_align: 8
    .kernarg_segment_size: 8
    .language:       OpenCL C
    .language_version:
      - 2
      - 0
    .max_flat_workgroup_size: 256
    .name:           _Z20warp_exchange_kernelILj256ELj4ELj64ELN6hipcub21WarpExchangeAlgorithmE0E18StripedToBlockedOpiEvPT4_
    .private_segment_fixed_size: 0
    .sgpr_count:     11
    .sgpr_spill_count: 0
    .symbol:         _Z20warp_exchange_kernelILj256ELj4ELj64ELN6hipcub21WarpExchangeAlgorithmE0E18StripedToBlockedOpiEvPT4_.kd
    .uniform_work_group_size: 1
    .uses_dynamic_stack: false
    .vgpr_count:     7
    .vgpr_spill_count: 0
    .wavefront_size: 64
  - .agpr_count:     0
    .args:
      - .address_space:  global
        .offset:         0
        .size:           8
        .value_kind:     global_buffer
    .group_segment_fixed_size: 0
    .kernarg_segment_align: 8
    .kernarg_segment_size: 8
    .language:       OpenCL C
    .language_version:
      - 2
      - 0
    .max_flat_workgroup_size: 256
    .name:           _Z20warp_exchange_kernelILj256ELj4ELj64ELN6hipcub21WarpExchangeAlgorithmE1E18StripedToBlockedOpiEvPT4_
    .private_segment_fixed_size: 0
    .sgpr_count:     11
    .sgpr_spill_count: 0
    .symbol:         _Z20warp_exchange_kernelILj256ELj4ELj64ELN6hipcub21WarpExchangeAlgorithmE1E18StripedToBlockedOpiEvPT4_.kd
    .uniform_work_group_size: 1
    .uses_dynamic_stack: false
    .vgpr_count:     15
    .vgpr_spill_count: 0
    .wavefront_size: 64
  - .agpr_count:     0
    .args:
      - .address_space:  global
        .offset:         0
        .size:           8
        .value_kind:     global_buffer
    .group_segment_fixed_size: 4096
    .kernarg_segment_align: 8
    .kernarg_segment_size: 8
    .language:       OpenCL C
    .language_version:
      - 2
      - 0
    .max_flat_workgroup_size: 256
    .name:           _Z20warp_exchange_kernelILj256ELj4ELj64ELN6hipcub21WarpExchangeAlgorithmE0E18BlockedToStripedOpiEvPT4_
    .private_segment_fixed_size: 0
    .sgpr_count:     11
    .sgpr_spill_count: 0
    .symbol:         _Z20warp_exchange_kernelILj256ELj4ELj64ELN6hipcub21WarpExchangeAlgorithmE0E18BlockedToStripedOpiEvPT4_.kd
    .uniform_work_group_size: 1
    .uses_dynamic_stack: false
    .vgpr_count:     8
    .vgpr_spill_count: 0
    .wavefront_size: 64
  - .agpr_count:     0
    .args:
      - .address_space:  global
        .offset:         0
        .size:           8
        .value_kind:     global_buffer
    .group_segment_fixed_size: 0
    .kernarg_segment_align: 8
    .kernarg_segment_size: 8
    .language:       OpenCL C
    .language_version:
      - 2
      - 0
    .max_flat_workgroup_size: 256
    .name:           _Z20warp_exchange_kernelILj256ELj4ELj64ELN6hipcub21WarpExchangeAlgorithmE1E18BlockedToStripedOpiEvPT4_
    .private_segment_fixed_size: 0
    .sgpr_count:     11
    .sgpr_spill_count: 0
    .symbol:         _Z20warp_exchange_kernelILj256ELj4ELj64ELN6hipcub21WarpExchangeAlgorithmE1E18BlockedToStripedOpiEvPT4_.kd
    .uniform_work_group_size: 1
    .uses_dynamic_stack: false
    .vgpr_count:     17
    .vgpr_spill_count: 0
    .wavefront_size: 64
  - .agpr_count:     0
    .args:
      - .address_space:  global
        .offset:         0
        .size:           8
        .value_kind:     global_buffer
    .group_segment_fixed_size: 4096
    .kernarg_segment_align: 8
    .kernarg_segment_size: 8
    .language:       OpenCL C
    .language_version:
      - 2
      - 0
    .max_flat_workgroup_size: 256
    .name:           _Z39warp_exchange_scatter_to_striped_kernelIiLj256ELj4ELj64EiEvPT3_
    .private_segment_fixed_size: 0
    .sgpr_count:     11
    .sgpr_spill_count: 0
    .symbol:         _Z39warp_exchange_scatter_to_striped_kernelIiLj256ELj4ELj64EiEvPT3_.kd
    .uniform_work_group_size: 1
    .uses_dynamic_stack: false
    .vgpr_count:     9
    .vgpr_spill_count: 0
    .wavefront_size: 64
amdhsa.target:   amdgcn-amd-amdhsa--gfx90a
amdhsa.version:
  - 1
  - 2
...

	.end_amdgpu_metadata
